;; amdgpu-corpus repo=ROCm/rocFFT kind=compiled arch=gfx906 opt=O3
	.text
	.amdgcn_target "amdgcn-amd-amdhsa--gfx906"
	.amdhsa_code_object_version 6
	.protected	fft_rtc_back_len1512_factors_2_2_2_3_3_3_7_wgs_63_tpt_63_halfLds_half_ip_CI_unitstride_sbrr_C2R_dirReg ; -- Begin function fft_rtc_back_len1512_factors_2_2_2_3_3_3_7_wgs_63_tpt_63_halfLds_half_ip_CI_unitstride_sbrr_C2R_dirReg
	.globl	fft_rtc_back_len1512_factors_2_2_2_3_3_3_7_wgs_63_tpt_63_halfLds_half_ip_CI_unitstride_sbrr_C2R_dirReg
	.p2align	8
	.type	fft_rtc_back_len1512_factors_2_2_2_3_3_3_7_wgs_63_tpt_63_halfLds_half_ip_CI_unitstride_sbrr_C2R_dirReg,@function
fft_rtc_back_len1512_factors_2_2_2_3_3_3_7_wgs_63_tpt_63_halfLds_half_ip_CI_unitstride_sbrr_C2R_dirReg: ; @fft_rtc_back_len1512_factors_2_2_2_3_3_3_7_wgs_63_tpt_63_halfLds_half_ip_CI_unitstride_sbrr_C2R_dirReg
; %bb.0:
	s_load_dwordx2 s[2:3], s[4:5], 0x50
	s_load_dwordx4 s[8:11], s[4:5], 0x0
	s_load_dwordx2 s[12:13], s[4:5], 0x18
	v_mul_u32_u24_e32 v1, 0x411, v0
	v_add_u32_sdwa v5, s6, v1 dst_sel:DWORD dst_unused:UNUSED_PAD src0_sel:DWORD src1_sel:WORD_1
	v_mov_b32_e32 v3, 0
	s_waitcnt lgkmcnt(0)
	v_cmp_lt_u64_e64 s[0:1], s[10:11], 2
	v_mov_b32_e32 v1, 0
	v_mov_b32_e32 v6, v3
	s_and_b64 vcc, exec, s[0:1]
	v_mov_b32_e32 v2, 0
	s_cbranch_vccnz .LBB0_8
; %bb.1:
	s_load_dwordx2 s[0:1], s[4:5], 0x10
	s_add_u32 s6, s12, 8
	s_addc_u32 s7, s13, 0
	v_mov_b32_e32 v1, 0
	v_mov_b32_e32 v2, 0
	s_waitcnt lgkmcnt(0)
	s_add_u32 s14, s0, 8
	s_addc_u32 s15, s1, 0
	s_mov_b64 s[16:17], 1
.LBB0_2:                                ; =>This Inner Loop Header: Depth=1
	s_load_dwordx2 s[18:19], s[14:15], 0x0
                                        ; implicit-def: $vgpr7_vgpr8
	s_waitcnt lgkmcnt(0)
	v_or_b32_e32 v4, s19, v6
	v_cmp_ne_u64_e32 vcc, 0, v[3:4]
	s_and_saveexec_b64 s[0:1], vcc
	s_xor_b64 s[20:21], exec, s[0:1]
	s_cbranch_execz .LBB0_4
; %bb.3:                                ;   in Loop: Header=BB0_2 Depth=1
	v_cvt_f32_u32_e32 v4, s18
	v_cvt_f32_u32_e32 v7, s19
	s_sub_u32 s0, 0, s18
	s_subb_u32 s1, 0, s19
	v_mac_f32_e32 v4, 0x4f800000, v7
	v_rcp_f32_e32 v4, v4
	v_mul_f32_e32 v4, 0x5f7ffffc, v4
	v_mul_f32_e32 v7, 0x2f800000, v4
	v_trunc_f32_e32 v7, v7
	v_mac_f32_e32 v4, 0xcf800000, v7
	v_cvt_u32_f32_e32 v7, v7
	v_cvt_u32_f32_e32 v4, v4
	v_mul_lo_u32 v8, s0, v7
	v_mul_hi_u32 v9, s0, v4
	v_mul_lo_u32 v11, s1, v4
	v_mul_lo_u32 v10, s0, v4
	v_add_u32_e32 v8, v9, v8
	v_add_u32_e32 v8, v8, v11
	v_mul_hi_u32 v9, v4, v10
	v_mul_lo_u32 v11, v4, v8
	v_mul_hi_u32 v13, v4, v8
	v_mul_hi_u32 v12, v7, v10
	v_mul_lo_u32 v10, v7, v10
	v_mul_hi_u32 v14, v7, v8
	v_add_co_u32_e32 v9, vcc, v9, v11
	v_addc_co_u32_e32 v11, vcc, 0, v13, vcc
	v_mul_lo_u32 v8, v7, v8
	v_add_co_u32_e32 v9, vcc, v9, v10
	v_addc_co_u32_e32 v9, vcc, v11, v12, vcc
	v_addc_co_u32_e32 v10, vcc, 0, v14, vcc
	v_add_co_u32_e32 v8, vcc, v9, v8
	v_addc_co_u32_e32 v9, vcc, 0, v10, vcc
	v_add_co_u32_e32 v4, vcc, v4, v8
	v_addc_co_u32_e32 v7, vcc, v7, v9, vcc
	v_mul_lo_u32 v8, s0, v7
	v_mul_hi_u32 v9, s0, v4
	v_mul_lo_u32 v10, s1, v4
	v_mul_lo_u32 v11, s0, v4
	v_add_u32_e32 v8, v9, v8
	v_add_u32_e32 v8, v8, v10
	v_mul_lo_u32 v12, v4, v8
	v_mul_hi_u32 v13, v4, v11
	v_mul_hi_u32 v14, v4, v8
	;; [unrolled: 1-line block ×3, first 2 shown]
	v_mul_lo_u32 v11, v7, v11
	v_mul_hi_u32 v9, v7, v8
	v_add_co_u32_e32 v12, vcc, v13, v12
	v_addc_co_u32_e32 v13, vcc, 0, v14, vcc
	v_mul_lo_u32 v8, v7, v8
	v_add_co_u32_e32 v11, vcc, v12, v11
	v_addc_co_u32_e32 v10, vcc, v13, v10, vcc
	v_addc_co_u32_e32 v9, vcc, 0, v9, vcc
	v_add_co_u32_e32 v8, vcc, v10, v8
	v_addc_co_u32_e32 v9, vcc, 0, v9, vcc
	v_add_co_u32_e32 v4, vcc, v4, v8
	v_addc_co_u32_e32 v9, vcc, v7, v9, vcc
	v_mad_u64_u32 v[7:8], s[0:1], v5, v9, 0
	v_mul_hi_u32 v10, v5, v4
	v_add_co_u32_e32 v11, vcc, v10, v7
	v_addc_co_u32_e32 v12, vcc, 0, v8, vcc
	v_mad_u64_u32 v[7:8], s[0:1], v6, v4, 0
	v_mad_u64_u32 v[9:10], s[0:1], v6, v9, 0
	v_add_co_u32_e32 v4, vcc, v11, v7
	v_addc_co_u32_e32 v4, vcc, v12, v8, vcc
	v_addc_co_u32_e32 v7, vcc, 0, v10, vcc
	v_add_co_u32_e32 v4, vcc, v4, v9
	v_addc_co_u32_e32 v9, vcc, 0, v7, vcc
	v_mul_lo_u32 v10, s19, v4
	v_mul_lo_u32 v11, s18, v9
	v_mad_u64_u32 v[7:8], s[0:1], s18, v4, 0
	v_add3_u32 v8, v8, v11, v10
	v_sub_u32_e32 v10, v6, v8
	v_mov_b32_e32 v11, s19
	v_sub_co_u32_e32 v7, vcc, v5, v7
	v_subb_co_u32_e64 v10, s[0:1], v10, v11, vcc
	v_subrev_co_u32_e64 v11, s[0:1], s18, v7
	v_subbrev_co_u32_e64 v10, s[0:1], 0, v10, s[0:1]
	v_cmp_le_u32_e64 s[0:1], s19, v10
	v_cndmask_b32_e64 v12, 0, -1, s[0:1]
	v_cmp_le_u32_e64 s[0:1], s18, v11
	v_cndmask_b32_e64 v11, 0, -1, s[0:1]
	v_cmp_eq_u32_e64 s[0:1], s19, v10
	v_cndmask_b32_e64 v10, v12, v11, s[0:1]
	v_add_co_u32_e64 v11, s[0:1], 2, v4
	v_addc_co_u32_e64 v12, s[0:1], 0, v9, s[0:1]
	v_add_co_u32_e64 v13, s[0:1], 1, v4
	v_addc_co_u32_e64 v14, s[0:1], 0, v9, s[0:1]
	v_subb_co_u32_e32 v8, vcc, v6, v8, vcc
	v_cmp_ne_u32_e64 s[0:1], 0, v10
	v_cmp_le_u32_e32 vcc, s19, v8
	v_cndmask_b32_e64 v10, v14, v12, s[0:1]
	v_cndmask_b32_e64 v12, 0, -1, vcc
	v_cmp_le_u32_e32 vcc, s18, v7
	v_cndmask_b32_e64 v7, 0, -1, vcc
	v_cmp_eq_u32_e32 vcc, s19, v8
	v_cndmask_b32_e32 v7, v12, v7, vcc
	v_cmp_ne_u32_e32 vcc, 0, v7
	v_cndmask_b32_e64 v7, v13, v11, s[0:1]
	v_cndmask_b32_e32 v8, v9, v10, vcc
	v_cndmask_b32_e32 v7, v4, v7, vcc
.LBB0_4:                                ;   in Loop: Header=BB0_2 Depth=1
	s_andn2_saveexec_b64 s[0:1], s[20:21]
	s_cbranch_execz .LBB0_6
; %bb.5:                                ;   in Loop: Header=BB0_2 Depth=1
	v_cvt_f32_u32_e32 v4, s18
	s_sub_i32 s20, 0, s18
	v_rcp_iflag_f32_e32 v4, v4
	v_mul_f32_e32 v4, 0x4f7ffffe, v4
	v_cvt_u32_f32_e32 v4, v4
	v_mul_lo_u32 v7, s20, v4
	v_mul_hi_u32 v7, v4, v7
	v_add_u32_e32 v4, v4, v7
	v_mul_hi_u32 v4, v5, v4
	v_mul_lo_u32 v7, v4, s18
	v_add_u32_e32 v8, 1, v4
	v_sub_u32_e32 v7, v5, v7
	v_subrev_u32_e32 v9, s18, v7
	v_cmp_le_u32_e32 vcc, s18, v7
	v_cndmask_b32_e32 v7, v7, v9, vcc
	v_cndmask_b32_e32 v4, v4, v8, vcc
	v_add_u32_e32 v8, 1, v4
	v_cmp_le_u32_e32 vcc, s18, v7
	v_cndmask_b32_e32 v7, v4, v8, vcc
	v_mov_b32_e32 v8, v3
.LBB0_6:                                ;   in Loop: Header=BB0_2 Depth=1
	s_or_b64 exec, exec, s[0:1]
	v_mul_lo_u32 v4, v8, s18
	v_mul_lo_u32 v11, v7, s19
	v_mad_u64_u32 v[9:10], s[0:1], v7, s18, 0
	s_load_dwordx2 s[0:1], s[6:7], 0x0
	s_add_u32 s16, s16, 1
	v_add3_u32 v4, v10, v11, v4
	v_sub_co_u32_e32 v5, vcc, v5, v9
	v_subb_co_u32_e32 v4, vcc, v6, v4, vcc
	s_waitcnt lgkmcnt(0)
	v_mul_lo_u32 v4, s0, v4
	v_mul_lo_u32 v6, s1, v5
	v_mad_u64_u32 v[1:2], s[0:1], s0, v5, v[1:2]
	s_addc_u32 s17, s17, 0
	s_add_u32 s6, s6, 8
	v_add3_u32 v2, v6, v2, v4
	v_mov_b32_e32 v4, s10
	v_mov_b32_e32 v5, s11
	s_addc_u32 s7, s7, 0
	v_cmp_ge_u64_e32 vcc, s[16:17], v[4:5]
	s_add_u32 s14, s14, 8
	s_addc_u32 s15, s15, 0
	s_cbranch_vccnz .LBB0_9
; %bb.7:                                ;   in Loop: Header=BB0_2 Depth=1
	v_mov_b32_e32 v5, v7
	v_mov_b32_e32 v6, v8
	s_branch .LBB0_2
.LBB0_8:
	v_mov_b32_e32 v8, v6
	v_mov_b32_e32 v7, v5
.LBB0_9:
	s_lshl_b64 s[0:1], s[10:11], 3
	s_add_u32 s0, s12, s0
	s_addc_u32 s1, s13, s1
	s_load_dwordx2 s[6:7], s[0:1], 0x0
	s_load_dwordx2 s[10:11], s[4:5], 0x20
	s_waitcnt lgkmcnt(0)
	v_mad_u64_u32 v[1:2], s[0:1], s6, v7, v[1:2]
	v_mul_lo_u32 v3, s6, v8
	v_mul_lo_u32 v4, s7, v7
	s_mov_b32 s0, 0x4104105
	v_mul_hi_u32 v5, v0, s0
	v_cmp_gt_u64_e64 s[0:1], s[10:11], v[7:8]
	v_add3_u32 v2, v4, v2, v3
	v_lshlrev_b64 v[2:3], 2, v[1:2]
	v_mul_u32_u24_e32 v4, 63, v5
	v_sub_u32_e32 v0, v0, v4
	s_and_saveexec_b64 s[4:5], s[0:1]
	s_cbranch_execz .LBB0_13
; %bb.10:
	v_mov_b32_e32 v1, 0
	v_mov_b32_e32 v4, s3
	v_add_co_u32_e32 v5, vcc, s2, v2
	v_lshlrev_b64 v[6:7], 2, v[0:1]
	v_addc_co_u32_e32 v4, vcc, v4, v3, vcc
	v_add_co_u32_e32 v6, vcc, v5, v6
	v_addc_co_u32_e32 v7, vcc, v4, v7, vcc
	s_movk_i32 s6, 0x1000
	v_add_co_u32_e32 v8, vcc, s6, v6
	global_load_dword v10, v[6:7], off offset:1260
	global_load_dword v11, v[6:7], off offset:1512
	;; [unrolled: 1-line block ×11, first 2 shown]
	global_load_dword v21, v[6:7], off
	global_load_dword v22, v[6:7], off offset:252
	global_load_dword v23, v[6:7], off offset:504
	;; [unrolled: 1-line block ×4, first 2 shown]
	v_addc_co_u32_e32 v9, vcc, 0, v7, vcc
	global_load_dword v26, v[6:7], off offset:4032
	global_load_dword v27, v[8:9], off offset:188
	;; [unrolled: 1-line block ×8, first 2 shown]
	v_lshl_add_u32 v6, v0, 2, 0
	v_add_u32_e32 v7, 0x200, v6
	v_cmp_eq_u32_e32 vcc, 62, v0
	v_add_u32_e32 v8, 0x400, v6
	v_add_u32_e32 v9, 0x600, v6
	;; [unrolled: 1-line block ×9, first 2 shown]
	s_waitcnt vmcnt(9)
	ds_write2_b32 v7, v24, v10 offset0:124 offset1:187
	ds_write2_b32 v8, v11, v12 offset0:122 offset1:185
	;; [unrolled: 1-line block ×6, first 2 shown]
	ds_write2_b32 v6, v21, v22 offset1:63
	s_waitcnt vmcnt(8)
	ds_write2_b32 v6, v23, v25 offset0:126 offset1:189
	s_waitcnt vmcnt(6)
	ds_write2_b32 v37, v26, v27 offset0:112 offset1:175
	;; [unrolled: 2-line block ×5, first 2 shown]
	s_and_saveexec_b64 s[6:7], vcc
	s_cbranch_execz .LBB0_12
; %bb.11:
	v_add_co_u32_e32 v5, vcc, 0x1000, v5
	v_addc_co_u32_e32 v6, vcc, 0, v4, vcc
	global_load_dword v0, v[5:6], off offset:1952
	s_waitcnt vmcnt(0)
	ds_write_b32 v1, v0 offset:6048
	v_mov_b32_e32 v0, 62
.LBB0_12:
	s_or_b64 exec, exec, s[6:7]
.LBB0_13:
	s_or_b64 exec, exec, s[4:5]
	v_lshlrev_b32_e32 v1, 2, v0
	v_add_u32_e32 v30, 0, v1
	s_waitcnt lgkmcnt(0)
	; wave barrier
	s_waitcnt lgkmcnt(0)
	v_sub_u32_e32 v6, 0, v1
	ds_read_u16 v9, v30
	ds_read_u16 v10, v6 offset:6048
	s_add_u32 s6, s8, 0x1798
	s_addc_u32 s7, s9, 0
	v_cmp_ne_u32_e32 vcc, 0, v0
                                        ; implicit-def: $vgpr4_vgpr5
	s_waitcnt lgkmcnt(0)
	v_add_f16_e32 v7, v10, v9
	v_sub_f16_e32 v8, v9, v10
	s_and_saveexec_b64 s[4:5], vcc
	s_xor_b64 s[4:5], exec, s[4:5]
	s_cbranch_execz .LBB0_15
; %bb.14:
	v_mov_b32_e32 v1, 0
	v_lshlrev_b64 v[4:5], 2, v[0:1]
	v_mov_b32_e32 v7, s7
	v_add_co_u32_e32 v4, vcc, s6, v4
	v_addc_co_u32_e32 v5, vcc, v7, v5, vcc
	global_load_dword v4, v[4:5], off
	ds_read_u16 v5, v6 offset:6050
	ds_read_u16 v7, v30 offset:2
	v_add_f16_e32 v8, v10, v9
	v_sub_f16_e32 v9, v9, v10
	s_waitcnt lgkmcnt(0)
	v_add_f16_e32 v10, v5, v7
	v_sub_f16_e32 v5, v7, v5
	s_waitcnt vmcnt(0)
	v_lshrrev_b32_e32 v7, 16, v4
	v_fma_f16 v11, v9, v7, v8
	v_fma_f16 v12, v10, v7, v5
	v_fma_f16 v13, -v9, v7, v8
	v_fma_f16 v5, v10, v7, -v5
	v_fma_f16 v7, -v4, v10, v11
	v_fma_f16 v8, v9, v4, v12
	v_fma_f16 v10, v4, v10, v13
	;; [unrolled: 1-line block ×3, first 2 shown]
	v_pack_b32_f16 v4, v10, v4
	ds_write_b32 v6, v4 offset:6048
	v_mov_b32_e32 v5, v1
	v_mov_b32_e32 v4, v0
.LBB0_15:
	s_andn2_saveexec_b64 s[4:5], s[4:5]
	s_cbranch_execz .LBB0_17
; %bb.16:
	v_mov_b32_e32 v1, 0
	ds_read_b32 v4, v1 offset:3024
	s_mov_b32 s10, 0xc0004000
	s_waitcnt lgkmcnt(0)
	v_pk_mul_f16 v9, v4, s10
	v_mov_b32_e32 v4, 0
	v_mov_b32_e32 v5, 0
	ds_write_b32 v1, v9 offset:3024
.LBB0_17:
	s_or_b64 exec, exec, s[4:5]
	v_lshlrev_b64 v[4:5], 2, v[4:5]
	v_mov_b32_e32 v1, s7
	v_add_co_u32_e32 v4, vcc, s6, v4
	v_addc_co_u32_e32 v5, vcc, v1, v5, vcc
	global_load_dword v1, v[4:5], off offset:252
	global_load_dword v9, v[4:5], off offset:504
	;; [unrolled: 1-line block ×4, first 2 shown]
	s_mov_b32 s4, 0x5040100
	v_perm_b32 v7, v8, v7, s4
	ds_write_b32 v30, v7
	ds_read_b32 v7, v30 offset:252
	ds_read_b32 v8, v6 offset:5796
	global_load_dword v12, v[4:5], off offset:1260
	global_load_dword v13, v[4:5], off offset:1512
	;; [unrolled: 1-line block ×4, first 2 shown]
	v_add_u32_e32 v32, 0xc00, v30
	v_add_u32_e32 v31, 0xe00, v30
	;; [unrolled: 1-line block ×3, first 2 shown]
	s_waitcnt lgkmcnt(0)
	v_add_f16_e32 v16, v7, v8
	v_add_f16_sdwa v17, v8, v7 dst_sel:DWORD dst_unused:UNUSED_PAD src0_sel:WORD_1 src1_sel:WORD_1
	v_sub_f16_e32 v18, v7, v8
	v_sub_f16_sdwa v7, v7, v8 dst_sel:DWORD dst_unused:UNUSED_PAD src0_sel:WORD_1 src1_sel:WORD_1
	v_add_u32_e32 v33, 0x1000, v30
	v_add_u32_e32 v35, 0x800, v30
	;; [unrolled: 1-line block ×5, first 2 shown]
	s_mov_b32 s4, 0xffff
	s_movk_i32 s5, 0x7c
	s_movk_i32 s6, 0x2fc
	v_mov_b32_e32 v82, s9
	s_waitcnt vmcnt(7)
	v_lshrrev_b32_e32 v8, 16, v1
	v_fma_f16 v19, v18, v8, v16
	v_fma_f16 v20, v17, v8, v7
	v_fma_f16 v16, -v18, v8, v16
	v_fma_f16 v7, v17, v8, -v7
	v_fma_f16 v8, -v1, v17, v19
	v_fma_f16 v19, v18, v1, v20
	v_fma_f16 v16, v1, v17, v16
	v_fma_f16 v1, v18, v1, v7
	v_pack_b32_f16 v7, v8, v19
	v_pack_b32_f16 v1, v16, v1
	ds_write_b32 v30, v7 offset:252
	ds_write_b32 v6, v1 offset:5796
	ds_read_b32 v1, v30 offset:504
	ds_read_b32 v7, v6 offset:5544
	s_waitcnt vmcnt(6)
	v_lshrrev_b32_e32 v8, 16, v9
	s_waitcnt lgkmcnt(0)
	v_add_f16_e32 v16, v1, v7
	v_add_f16_sdwa v17, v7, v1 dst_sel:DWORD dst_unused:UNUSED_PAD src0_sel:WORD_1 src1_sel:WORD_1
	v_sub_f16_e32 v18, v1, v7
	v_sub_f16_sdwa v1, v1, v7 dst_sel:DWORD dst_unused:UNUSED_PAD src0_sel:WORD_1 src1_sel:WORD_1
	v_fma_f16 v7, v18, v8, v16
	v_fma_f16 v19, v17, v8, v1
	v_fma_f16 v16, -v18, v8, v16
	v_fma_f16 v1, v17, v8, -v1
	v_fma_f16 v7, -v9, v17, v7
	v_fma_f16 v8, v18, v9, v19
	v_fma_f16 v16, v9, v17, v16
	v_fma_f16 v1, v18, v9, v1
	v_pack_b32_f16 v7, v7, v8
	v_pack_b32_f16 v1, v16, v1
	ds_write_b32 v30, v7 offset:504
	ds_write_b32 v6, v1 offset:5544
	ds_read_b32 v1, v30 offset:756
	ds_read_b32 v7, v6 offset:5292
	s_waitcnt vmcnt(5)
	v_lshrrev_b32_e32 v8, 16, v10
	s_waitcnt lgkmcnt(0)
	v_add_f16_e32 v9, v1, v7
	v_add_f16_sdwa v16, v7, v1 dst_sel:DWORD dst_unused:UNUSED_PAD src0_sel:WORD_1 src1_sel:WORD_1
	v_sub_f16_e32 v17, v1, v7
	v_sub_f16_sdwa v1, v1, v7 dst_sel:DWORD dst_unused:UNUSED_PAD src0_sel:WORD_1 src1_sel:WORD_1
	v_fma_f16 v7, v17, v8, v9
	v_fma_f16 v18, v16, v8, v1
	v_fma_f16 v9, -v17, v8, v9
	v_fma_f16 v1, v16, v8, -v1
	v_fma_f16 v7, -v10, v16, v7
	v_fma_f16 v8, v17, v10, v18
	v_fma_f16 v9, v10, v16, v9
	v_fma_f16 v1, v17, v10, v1
	v_pack_b32_f16 v7, v7, v8
	v_pack_b32_f16 v1, v9, v1
	ds_write_b32 v30, v7 offset:756
	ds_write_b32 v6, v1 offset:5292
	ds_read_b32 v1, v30 offset:1008
	ds_read_b32 v7, v6 offset:5040
	s_waitcnt vmcnt(4)
	v_lshrrev_b32_e32 v8, 16, v11
	s_waitcnt lgkmcnt(0)
	v_add_f16_e32 v9, v1, v7
	v_add_f16_sdwa v10, v7, v1 dst_sel:DWORD dst_unused:UNUSED_PAD src0_sel:WORD_1 src1_sel:WORD_1
	v_sub_f16_e32 v16, v1, v7
	v_sub_f16_sdwa v1, v1, v7 dst_sel:DWORD dst_unused:UNUSED_PAD src0_sel:WORD_1 src1_sel:WORD_1
	v_fma_f16 v7, v16, v8, v9
	v_fma_f16 v17, v10, v8, v1
	v_fma_f16 v9, -v16, v8, v9
	v_fma_f16 v1, v10, v8, -v1
	v_fma_f16 v7, -v11, v10, v7
	v_fma_f16 v8, v16, v11, v17
	v_fma_f16 v9, v11, v10, v9
	;; [unrolled: 1-line block ×3, first 2 shown]
	v_pack_b32_f16 v7, v7, v8
	v_pack_b32_f16 v1, v9, v1
	ds_write_b32 v30, v7 offset:1008
	ds_write_b32 v6, v1 offset:5040
	ds_read_b32 v1, v30 offset:1260
	ds_read_b32 v7, v6 offset:4788
	s_waitcnt vmcnt(3)
	v_lshrrev_b32_e32 v9, 16, v12
	global_load_dword v8, v[4:5], off offset:2268
	s_waitcnt lgkmcnt(0)
	v_add_f16_e32 v10, v1, v7
	v_add_f16_sdwa v11, v7, v1 dst_sel:DWORD dst_unused:UNUSED_PAD src0_sel:WORD_1 src1_sel:WORD_1
	v_sub_f16_e32 v16, v1, v7
	v_sub_f16_sdwa v1, v1, v7 dst_sel:DWORD dst_unused:UNUSED_PAD src0_sel:WORD_1 src1_sel:WORD_1
	v_fma_f16 v7, v16, v9, v10
	v_fma_f16 v17, v11, v9, v1
	v_fma_f16 v10, -v16, v9, v10
	v_fma_f16 v1, v11, v9, -v1
	v_fma_f16 v7, -v12, v11, v7
	v_fma_f16 v9, v16, v12, v17
	v_fma_f16 v10, v12, v11, v10
	v_fma_f16 v1, v16, v12, v1
	v_pack_b32_f16 v7, v7, v9
	v_pack_b32_f16 v1, v10, v1
	ds_write_b32 v30, v7 offset:1260
	ds_write_b32 v6, v1 offset:4788
	ds_read_b32 v1, v30 offset:1512
	ds_read_b32 v7, v6 offset:4536
	s_waitcnt vmcnt(3)
	v_lshrrev_b32_e32 v10, 16, v13
	global_load_dword v9, v[4:5], off offset:2520
	s_waitcnt lgkmcnt(0)
	v_add_f16_e32 v11, v1, v7
	v_add_f16_sdwa v12, v7, v1 dst_sel:DWORD dst_unused:UNUSED_PAD src0_sel:WORD_1 src1_sel:WORD_1
	v_sub_f16_e32 v16, v1, v7
	v_sub_f16_sdwa v1, v1, v7 dst_sel:DWORD dst_unused:UNUSED_PAD src0_sel:WORD_1 src1_sel:WORD_1
	v_fma_f16 v7, v16, v10, v11
	v_fma_f16 v17, v12, v10, v1
	v_fma_f16 v11, -v16, v10, v11
	v_fma_f16 v1, v12, v10, -v1
	v_fma_f16 v7, -v13, v12, v7
	v_fma_f16 v10, v16, v13, v17
	v_fma_f16 v11, v13, v12, v11
	;; [unrolled: 1-line block ×3, first 2 shown]
	v_pack_b32_f16 v7, v7, v10
	v_pack_b32_f16 v1, v11, v1
	ds_write_b32 v30, v7 offset:1512
	ds_write_b32 v6, v1 offset:4536
	ds_read_b32 v1, v30 offset:1764
	ds_read_b32 v7, v6 offset:4284
	s_waitcnt vmcnt(3)
	v_lshrrev_b32_e32 v10, 16, v14
	s_waitcnt lgkmcnt(0)
	v_add_f16_e32 v11, v1, v7
	v_add_f16_sdwa v12, v7, v1 dst_sel:DWORD dst_unused:UNUSED_PAD src0_sel:WORD_1 src1_sel:WORD_1
	v_sub_f16_e32 v13, v1, v7
	v_sub_f16_sdwa v1, v1, v7 dst_sel:DWORD dst_unused:UNUSED_PAD src0_sel:WORD_1 src1_sel:WORD_1
	v_fma_f16 v7, v13, v10, v11
	v_fma_f16 v16, v12, v10, v1
	v_fma_f16 v11, -v13, v10, v11
	v_fma_f16 v1, v12, v10, -v1
	v_fma_f16 v7, -v14, v12, v7
	v_fma_f16 v10, v13, v14, v16
	v_fma_f16 v11, v14, v12, v11
	;; [unrolled: 1-line block ×3, first 2 shown]
	v_pack_b32_f16 v7, v7, v10
	v_pack_b32_f16 v1, v11, v1
	ds_write_b32 v30, v7 offset:1764
	ds_write_b32 v6, v1 offset:4284
	global_load_dword v1, v[4:5], off offset:2772
	ds_read_b32 v4, v30 offset:2016
	ds_read_b32 v5, v6 offset:4032
	v_add_u32_e32 v14, 63, v0
	v_and_b32_e32 v45, 1, v14
	s_waitcnt lgkmcnt(0)
	v_add_f16_e32 v7, v4, v5
	v_add_f16_sdwa v10, v5, v4 dst_sel:DWORD dst_unused:UNUSED_PAD src0_sel:WORD_1 src1_sel:WORD_1
	v_sub_f16_e32 v11, v4, v5
	v_sub_f16_sdwa v4, v4, v5 dst_sel:DWORD dst_unused:UNUSED_PAD src0_sel:WORD_1 src1_sel:WORD_1
	s_waitcnt vmcnt(3)
	v_lshrrev_b32_e32 v5, 16, v15
	v_fma_f16 v12, v11, v5, v7
	v_fma_f16 v13, v10, v5, v4
	v_fma_f16 v7, -v11, v5, v7
	v_fma_f16 v4, v10, v5, -v4
	v_fma_f16 v12, -v15, v10, v12
	v_fma_f16 v13, v11, v15, v13
	v_fma_f16 v7, v15, v10, v7
	;; [unrolled: 1-line block ×3, first 2 shown]
	v_pack_b32_f16 v12, v12, v13
	v_pack_b32_f16 v4, v7, v4
	ds_write_b32 v30, v12 offset:2016
	ds_write_b32 v6, v4 offset:4032
	ds_read_b32 v4, v30 offset:2268
	ds_read_b32 v5, v6 offset:3780
	s_waitcnt lgkmcnt(0)
	v_add_f16_e32 v7, v4, v5
	v_add_f16_sdwa v10, v5, v4 dst_sel:DWORD dst_unused:UNUSED_PAD src0_sel:WORD_1 src1_sel:WORD_1
	v_sub_f16_e32 v11, v4, v5
	v_sub_f16_sdwa v4, v4, v5 dst_sel:DWORD dst_unused:UNUSED_PAD src0_sel:WORD_1 src1_sel:WORD_1
	s_waitcnt vmcnt(2)
	v_lshrrev_b32_e32 v5, 16, v8
	v_fma_f16 v12, v11, v5, v7
	v_fma_f16 v13, v10, v5, v4
	v_fma_f16 v7, -v11, v5, v7
	v_fma_f16 v4, v10, v5, -v4
	v_fma_f16 v12, -v8, v10, v12
	v_fma_f16 v13, v11, v8, v13
	v_fma_f16 v7, v8, v10, v7
	;; [unrolled: 1-line block ×3, first 2 shown]
	v_pack_b32_f16 v12, v12, v13
	v_pack_b32_f16 v4, v7, v4
	ds_write_b32 v30, v12 offset:2268
	ds_write_b32 v6, v4 offset:3780
	ds_read_b32 v4, v30 offset:2520
	ds_read_b32 v5, v6 offset:3528
	v_lshl_add_u32 v13, v0, 2, v30
	s_waitcnt lgkmcnt(0)
	v_add_f16_e32 v7, v4, v5
	v_add_f16_sdwa v8, v5, v4 dst_sel:DWORD dst_unused:UNUSED_PAD src0_sel:WORD_1 src1_sel:WORD_1
	v_sub_f16_e32 v10, v4, v5
	v_sub_f16_sdwa v4, v4, v5 dst_sel:DWORD dst_unused:UNUSED_PAD src0_sel:WORD_1 src1_sel:WORD_1
	s_waitcnt vmcnt(1)
	v_lshrrev_b32_e32 v5, 16, v9
	v_fma_f16 v11, v10, v5, v7
	v_fma_f16 v12, v8, v5, v4
	v_fma_f16 v7, -v10, v5, v7
	v_fma_f16 v4, v8, v5, -v4
	v_fma_f16 v11, -v9, v8, v11
	v_fma_f16 v12, v10, v9, v12
	v_fma_f16 v7, v9, v8, v7
	;; [unrolled: 1-line block ×3, first 2 shown]
	v_pack_b32_f16 v11, v11, v12
	v_pack_b32_f16 v4, v7, v4
	ds_write_b32 v30, v11 offset:2520
	ds_write_b32 v6, v4 offset:3528
	ds_read_b32 v4, v30 offset:2772
	ds_read_b32 v5, v6 offset:3276
	s_waitcnt lgkmcnt(0)
	v_add_f16_e32 v7, v4, v5
	v_add_f16_sdwa v8, v5, v4 dst_sel:DWORD dst_unused:UNUSED_PAD src0_sel:WORD_1 src1_sel:WORD_1
	v_sub_f16_e32 v9, v4, v5
	v_sub_f16_sdwa v4, v4, v5 dst_sel:DWORD dst_unused:UNUSED_PAD src0_sel:WORD_1 src1_sel:WORD_1
	s_waitcnt vmcnt(0)
	v_lshrrev_b32_e32 v5, 16, v1
	v_fma_f16 v10, v9, v5, v7
	v_fma_f16 v11, v8, v5, v4
	v_fma_f16 v7, -v9, v5, v7
	v_fma_f16 v4, v8, v5, -v4
	v_fma_f16 v10, -v1, v8, v10
	v_fma_f16 v11, v9, v1, v11
	v_fma_f16 v7, v1, v8, v7
	;; [unrolled: 1-line block ×3, first 2 shown]
	v_pack_b32_f16 v10, v10, v11
	v_pack_b32_f16 v1, v7, v1
	ds_write_b32 v30, v10 offset:2772
	ds_write_b32 v6, v1 offset:3276
	s_waitcnt lgkmcnt(0)
	; wave barrier
	s_waitcnt lgkmcnt(0)
	s_waitcnt lgkmcnt(0)
	; wave barrier
	s_waitcnt lgkmcnt(0)
	ds_read2_b32 v[4:5], v30 offset1:63
	v_add_u32_e32 v1, 0xa00, v30
	ds_read2_b32 v[9:10], v1 offset0:116 offset1:179
	ds_read2_b32 v[11:12], v30 offset0:126 offset1:189
	;; [unrolled: 1-line block ×3, first 2 shown]
	v_add_u32_e32 v6, 0x200, v30
	v_add_u32_e32 v8, 0x600, v30
	s_waitcnt lgkmcnt(2)
	v_pk_add_f16 v9, v4, v9 neg_lo:[0,1] neg_hi:[0,1]
	v_pk_fma_f16 v4, v4, 2.0, v9 op_sel_hi:[1,0,1] neg_lo:[0,0,1] neg_hi:[0,0,1]
	v_add_u32_e32 v7, 0x1200, v30
	ds_read2_b32 v[17:18], v6 offset0:124 offset1:187
	ds_read2_b32 v[19:20], v31 offset0:112 offset1:175
	;; [unrolled: 1-line block ×8, first 2 shown]
	s_waitcnt lgkmcnt(0)
	; wave barrier
	s_waitcnt lgkmcnt(0)
	ds_write2_b32 v13, v4, v9 offset1:1
	v_pk_add_f16 v4, v5, v10 neg_lo:[0,1] neg_hi:[0,1]
	v_pk_fma_f16 v5, v5, 2.0, v4 op_sel_hi:[1,0,1] neg_lo:[0,0,1] neg_hi:[0,0,1]
	v_lshl_add_u32 v9, v14, 3, 0
	ds_write2_b32 v9, v5, v4 offset1:1
	v_add_u32_e32 v13, 0x7e, v0
	v_pk_add_f16 v5, v11, v15 neg_lo:[0,1] neg_hi:[0,1]
	v_lshl_add_u32 v4, v13, 3, 0
	v_pk_fma_f16 v9, v11, 2.0, v5 op_sel_hi:[1,0,1] neg_lo:[0,0,1] neg_hi:[0,0,1]
	ds_write2_b32 v4, v9, v5 offset1:1
	v_pk_add_f16 v4, v12, v16 neg_lo:[0,1] neg_hi:[0,1]
	v_pk_fma_f16 v5, v12, 2.0, v4 op_sel_hi:[1,0,1] neg_lo:[0,0,1] neg_hi:[0,0,1]
	v_lshl_add_u32 v9, v37, 3, 0
	ds_write2_b32 v9, v5, v4 offset1:1
	v_add_u32_e32 v12, 0xfc, v0
	v_pk_add_f16 v5, v17, v19 neg_lo:[0,1] neg_hi:[0,1]
	v_lshl_add_u32 v4, v12, 3, 0
	v_pk_fma_f16 v9, v17, 2.0, v5 op_sel_hi:[1,0,1] neg_lo:[0,0,1] neg_hi:[0,0,1]
	ds_write2_b32 v4, v9, v5 offset1:1
	v_pk_add_f16 v4, v18, v20 neg_lo:[0,1] neg_hi:[0,1]
	v_add_u32_e32 v11, 0x13b, v0
	v_pk_fma_f16 v5, v18, 2.0, v4 op_sel_hi:[1,0,1] neg_lo:[0,0,1] neg_hi:[0,0,1]
	v_lshl_add_u32 v9, v11, 3, 0
	ds_write2_b32 v9, v5, v4 offset1:1
	v_add_u32_e32 v10, 0x17a, v0
	v_pk_add_f16 v5, v21, v23 neg_lo:[0,1] neg_hi:[0,1]
	v_lshl_add_u32 v4, v10, 3, 0
	v_pk_fma_f16 v9, v21, 2.0, v5 op_sel_hi:[1,0,1] neg_lo:[0,0,1] neg_hi:[0,0,1]
	ds_write2_b32 v4, v9, v5 offset1:1
	v_pk_add_f16 v4, v22, v24 neg_lo:[0,1] neg_hi:[0,1]
	v_add_u32_e32 v9, 0x1b9, v0
	v_pk_fma_f16 v5, v22, 2.0, v4 op_sel_hi:[1,0,1] neg_lo:[0,0,1] neg_hi:[0,0,1]
	v_lshl_add_u32 v15, v9, 3, 0
	ds_write2_b32 v15, v5, v4 offset1:1
	v_pk_add_f16 v5, v25, v27 neg_lo:[0,1] neg_hi:[0,1]
	v_lshl_add_u32 v4, v29, 3, 0
	v_pk_fma_f16 v15, v25, 2.0, v5 op_sel_hi:[1,0,1] neg_lo:[0,0,1] neg_hi:[0,0,1]
	ds_write2_b32 v4, v15, v5 offset1:1
	v_pk_add_f16 v4, v26, v28 neg_lo:[0,1] neg_hi:[0,1]
	v_add_u32_e32 v15, 0x237, v0
	v_pk_fma_f16 v5, v26, 2.0, v4 op_sel_hi:[1,0,1] neg_lo:[0,0,1] neg_hi:[0,0,1]
	v_lshl_add_u32 v16, v15, 3, 0
	ds_write2_b32 v16, v5, v4 offset1:1
	v_add_u32_e32 v28, 0x276, v0
	v_pk_add_f16 v5, v38, v40 neg_lo:[0,1] neg_hi:[0,1]
	v_lshl_add_u32 v4, v28, 3, 0
	v_pk_fma_f16 v16, v38, 2.0, v5 op_sel_hi:[1,0,1] neg_lo:[0,0,1] neg_hi:[0,0,1]
	ds_write2_b32 v4, v16, v5 offset1:1
	v_pk_add_f16 v4, v39, v41 neg_lo:[0,1] neg_hi:[0,1]
	v_add_u32_e32 v5, 0x2b5, v0
	v_pk_fma_f16 v16, v39, 2.0, v4 op_sel_hi:[1,0,1] neg_lo:[0,0,1] neg_hi:[0,0,1]
	v_lshl_add_u32 v17, v5, 3, 0
	v_and_b32_e32 v39, 1, v11
	ds_write2_b32 v17, v16, v4 offset1:1
	v_and_b32_e32 v38, 1, v37
	v_lshlrev_b32_e32 v16, 2, v39
	s_waitcnt lgkmcnt(0)
	; wave barrier
	s_waitcnt lgkmcnt(0)
	v_lshlrev_b32_e32 v4, 2, v38
	global_load_ushort v20, v16, s[8:9]
	global_load_ushort v18, v4, s[8:9] offset:2
	global_load_ushort v21, v4, s[8:9]
	v_and_b32_e32 v40, 1, v0
	v_lshlrev_b32_e32 v4, 2, v40
	global_load_dword v4, v4, s[8:9]
	v_and_b32_e32 v41, 1, v5
	v_lshlrev_b32_e32 v17, 2, v41
	global_load_ushort v22, v17, s[8:9] offset:2
	global_load_ushort v23, v17, s[8:9]
	v_and_b32_e32 v42, 1, v15
	v_lshlrev_b32_e32 v17, 2, v42
	global_load_ushort v24, v17, s[8:9] offset:2
	global_load_ushort v25, v17, s[8:9]
	;; [unrolled: 4-line block ×3, first 2 shown]
	global_load_ushort v44, v16, s[8:9] offset:2
	v_lshlrev_b32_e32 v16, 2, v45
	global_load_dword v46, v16, s[8:9]
	ds_read2_b32 v[16:17], v32 offset0:114 offset1:177
	v_lshlrev_b32_e32 v29, 1, v29
	s_waitcnt vmcnt(10) lgkmcnt(0)
	v_pk_mul_f16 v47, v17, v18 op_sel_hi:[1,0]
	ds_read2_b32 v[18:19], v36 offset0:106 offset1:169
	s_waitcnt vmcnt(9)
	v_pk_fma_f16 v48, v17, v21, v47 op_sel:[0,0,1] op_sel_hi:[1,1,0]
	v_pk_fma_f16 v47, v17, v21, v47 op_sel:[0,0,1] op_sel_hi:[1,0,0] neg_lo:[0,0,1] neg_hi:[0,0,1]
	s_waitcnt vmcnt(8)
	v_pk_mul_f16 v17, v4, v16 op_sel:[0,1]
	v_pk_fma_f16 v49, v4, v16, v17 op_sel:[0,0,1] op_sel_hi:[1,1,0]
	v_pk_fma_f16 v50, v4, v16, v17 op_sel:[0,0,1] op_sel_hi:[1,0,0] neg_lo:[1,0,0] neg_hi:[1,0,0]
	s_waitcnt vmcnt(7) lgkmcnt(0)
	v_pk_mul_f16 v21, v19, v22 op_sel_hi:[1,0]
	ds_read2_b32 v[16:17], v7 offset0:108 offset1:171
	s_waitcnt vmcnt(6)
	v_pk_fma_f16 v51, v19, v23, v21 op_sel:[0,0,1] op_sel_hi:[1,1,0]
	v_pk_fma_f16 v52, v19, v23, v21 op_sel:[0,0,1] op_sel_hi:[1,0,0] neg_lo:[0,0,1] neg_hi:[0,0,1]
	v_pk_mul_f16 v19, v18, v4 op_sel:[0,1]
	v_pk_fma_f16 v53, v18, v4, v19 op_sel:[0,0,1] op_sel_hi:[1,1,0]
	v_pk_fma_f16 v54, v18, v4, v19 op_sel:[0,0,1] op_sel_hi:[1,0,0] neg_lo:[0,0,1] neg_hi:[0,0,1]
	ds_read2_b32 v[18:19], v33 offset0:110 offset1:173
	s_waitcnt vmcnt(5) lgkmcnt(1)
	v_pk_mul_f16 v21, v17, v24 op_sel_hi:[1,0]
	s_waitcnt vmcnt(4)
	v_pk_fma_f16 v55, v17, v25, v21 op_sel:[0,0,1] op_sel_hi:[1,1,0]
	v_pk_fma_f16 v56, v17, v25, v21 op_sel:[0,0,1] op_sel_hi:[1,0,0] neg_lo:[0,0,1] neg_hi:[0,0,1]
	v_pk_mul_f16 v17, v16, v4 op_sel:[0,1]
	v_pk_fma_f16 v57, v16, v4, v17 op_sel:[0,0,1] op_sel_hi:[1,1,0]
	v_pk_fma_f16 v58, v16, v4, v17 op_sel:[0,0,1] op_sel_hi:[1,0,0] neg_lo:[0,0,1] neg_hi:[0,0,1]
	s_waitcnt vmcnt(3) lgkmcnt(0)
	v_pk_mul_f16 v21, v19, v26 op_sel_hi:[1,0]
	ds_read2_b32 v[16:17], v31 offset0:112 offset1:175
	s_waitcnt vmcnt(2)
	v_pk_fma_f16 v59, v19, v27, v21 op_sel:[0,0,1] op_sel_hi:[1,1,0]
	v_pk_fma_f16 v60, v19, v27, v21 op_sel:[0,0,1] op_sel_hi:[1,0,0] neg_lo:[0,0,1] neg_hi:[0,0,1]
	v_pk_mul_f16 v19, v18, v4 op_sel:[0,1]
	v_pk_fma_f16 v61, v18, v4, v19 op_sel:[0,0,1] op_sel_hi:[1,1,0]
	v_pk_fma_f16 v62, v18, v4, v19 op_sel:[0,0,1] op_sel_hi:[1,0,0] neg_lo:[0,0,1] neg_hi:[0,0,1]
	ds_read2_b32 v[18:19], v1 offset0:116 offset1:179
	s_waitcnt vmcnt(1) lgkmcnt(1)
	v_pk_mul_f16 v21, v17, v44 op_sel_hi:[1,0]
	v_pk_fma_f16 v44, v17, v20, v21 op_sel:[0,0,1] op_sel_hi:[1,1,0]
	v_pk_fma_f16 v63, v17, v20, v21 op_sel:[0,0,1] op_sel_hi:[1,0,0] neg_lo:[0,0,1] neg_hi:[0,0,1]
	v_pk_mul_f16 v17, v16, v4 op_sel:[0,1]
	v_pk_fma_f16 v64, v16, v4, v17 op_sel:[0,0,1] op_sel_hi:[1,1,0]
	v_pk_fma_f16 v65, v16, v4, v17 op_sel:[0,0,1] op_sel_hi:[1,0,0] neg_lo:[0,0,1] neg_hi:[0,0,1]
	s_waitcnt vmcnt(0) lgkmcnt(0)
	v_pk_mul_f16 v16, v46, v19 op_sel:[0,1]
	v_pk_fma_f16 v66, v46, v19, v16 op_sel:[0,0,1] op_sel_hi:[1,1,0]
	v_pk_fma_f16 v46, v46, v19, v16 op_sel:[0,0,1] op_sel_hi:[1,0,0] neg_lo:[1,0,0] neg_hi:[1,0,0]
	v_pk_mul_f16 v16, v4, v18 op_sel:[0,1]
	v_pk_fma_f16 v17, v4, v18, v16 op_sel:[0,0,1] op_sel_hi:[1,1,0]
	v_pk_fma_f16 v4, v4, v18, v16 op_sel:[0,0,1] op_sel_hi:[1,0,0] neg_lo:[1,0,0] neg_hi:[1,0,0]
	v_bfi_b32 v18, s4, v17, v4
	ds_read2_b32 v[16:17], v30 offset1:63
	v_lshlrev_b32_e32 v4, 1, v0
	v_and_or_b32 v19, v4, s5, v40
	v_lshl_add_u32 v67, v19, 2, 0
	s_movk_i32 s5, 0xfc
	s_waitcnt lgkmcnt(0)
	v_pk_add_f16 v68, v16, v18 neg_lo:[0,1] neg_hi:[0,1]
	v_pk_fma_f16 v16, v16, 2.0, v68 op_sel_hi:[1,0,1] neg_lo:[0,0,1] neg_hi:[0,0,1]
	ds_read2_b32 v[18:19], v30 offset0:126 offset1:189
	ds_read2_b32 v[20:21], v6 offset0:124 offset1:187
	;; [unrolled: 1-line block ×5, first 2 shown]
	s_waitcnt lgkmcnt(0)
	; wave barrier
	s_waitcnt lgkmcnt(0)
	ds_write2_b32 v67, v16, v68 offset1:2
	v_bfi_b32 v16, s4, v66, v46
	v_lshlrev_b32_e32 v46, 1, v14
	v_pk_add_f16 v16, v17, v16 neg_lo:[0,1] neg_hi:[0,1]
	v_and_or_b32 v45, v46, s5, v45
	v_pk_fma_f16 v17, v17, 2.0, v16 op_sel_hi:[1,0,1] neg_lo:[0,0,1] neg_hi:[0,0,1]
	v_lshl_add_u32 v45, v45, 2, 0
	ds_write2_b32 v45, v17, v16 offset1:2
	v_bfi_b32 v16, s4, v49, v50
	s_movk_i32 s5, 0x1fc
	v_lshlrev_b32_e32 v45, 1, v13
	v_and_or_b32 v17, v45, s5, v40
	v_pk_add_f16 v16, v18, v16 neg_lo:[0,1] neg_hi:[0,1]
	v_lshl_add_u32 v17, v17, 2, 0
	v_pk_fma_f16 v18, v18, 2.0, v16 op_sel_hi:[1,0,1] neg_lo:[0,0,1] neg_hi:[0,0,1]
	ds_write2_b32 v17, v18, v16 offset1:2
	v_bfi_b32 v16, s4, v48, v47
	v_lshlrev_b32_e32 v47, 1, v37
	v_pk_add_f16 v16, v19, v16 neg_lo:[0,1] neg_hi:[0,1]
	v_and_or_b32 v18, v47, s5, v38
	v_pk_fma_f16 v17, v19, 2.0, v16 op_sel_hi:[1,0,1] neg_lo:[0,0,1] neg_hi:[0,0,1]
	v_lshl_add_u32 v18, v18, 2, 0
	ds_write2_b32 v18, v17, v16 offset1:2
	v_bfi_b32 v16, s4, v64, v65
	s_movk_i32 s5, 0x3fc
	v_lshlrev_b32_e32 v38, 1, v12
	v_and_or_b32 v17, v38, s5, v40
	v_pk_add_f16 v16, v20, v16 neg_lo:[0,1] neg_hi:[0,1]
	v_lshl_add_u32 v17, v17, 2, 0
	v_pk_fma_f16 v18, v20, 2.0, v16 op_sel_hi:[1,0,1] neg_lo:[0,0,1] neg_hi:[0,0,1]
	ds_write2_b32 v17, v18, v16 offset1:2
	v_bfi_b32 v16, s4, v44, v63
	v_lshlrev_b32_e32 v44, 1, v11
	v_pk_add_f16 v16, v21, v16 neg_lo:[0,1] neg_hi:[0,1]
	v_and_or_b32 v18, v44, s6, v39
	v_pk_fma_f16 v17, v21, 2.0, v16 op_sel_hi:[1,0,1] neg_lo:[0,0,1] neg_hi:[0,0,1]
	v_lshl_add_u32 v18, v18, 2, 0
	ds_write2_b32 v18, v17, v16 offset1:2
	v_bfi_b32 v16, s4, v61, v62
	v_lshlrev_b32_e32 v39, 1, v10
	v_and_or_b32 v17, v39, s5, v40
	v_pk_add_f16 v16, v22, v16 neg_lo:[0,1] neg_hi:[0,1]
	v_lshl_add_u32 v17, v17, 2, 0
	v_pk_fma_f16 v18, v22, 2.0, v16 op_sel_hi:[1,0,1] neg_lo:[0,0,1] neg_hi:[0,0,1]
	ds_write2_b32 v17, v18, v16 offset1:2
	v_bfi_b32 v16, s4, v59, v60
	v_lshlrev_b32_e32 v48, 1, v9
	v_pk_add_f16 v16, v23, v16 neg_lo:[0,1] neg_hi:[0,1]
	v_and_or_b32 v18, v48, s5, v43
	v_pk_fma_f16 v17, v23, 2.0, v16 op_sel_hi:[1,0,1] neg_lo:[0,0,1] neg_hi:[0,0,1]
	v_lshl_add_u32 v18, v18, 2, 0
	ds_write2_b32 v18, v17, v16 offset1:2
	v_bfi_b32 v16, s4, v57, v58
	s_movk_i32 s5, 0x7fc
	v_and_or_b32 v17, v29, s5, v40
	v_pk_add_f16 v16, v24, v16 neg_lo:[0,1] neg_hi:[0,1]
	v_lshl_add_u32 v17, v17, 2, 0
	v_pk_fma_f16 v18, v24, 2.0, v16 op_sel_hi:[1,0,1] neg_lo:[0,0,1] neg_hi:[0,0,1]
	ds_write2_b32 v17, v18, v16 offset1:2
	v_bfi_b32 v16, s4, v55, v56
	s_movk_i32 s5, 0x4fc
	v_lshlrev_b32_e32 v43, 1, v15
	v_pk_add_f16 v16, v25, v16 neg_lo:[0,1] neg_hi:[0,1]
	v_and_or_b32 v18, v43, s5, v42
	v_pk_fma_f16 v17, v25, 2.0, v16 op_sel_hi:[1,0,1] neg_lo:[0,0,1] neg_hi:[0,0,1]
	v_lshl_add_u32 v18, v18, 2, 0
	ds_write2_b32 v18, v17, v16 offset1:2
	v_bfi_b32 v16, s4, v53, v54
	s_movk_i32 s5, 0x5fc
	v_lshlrev_b32_e32 v42, 1, v28
	v_and_or_b32 v17, v42, s5, v40
	v_pk_add_f16 v16, v26, v16 neg_lo:[0,1] neg_hi:[0,1]
	v_lshl_add_u32 v17, v17, 2, 0
	v_pk_fma_f16 v18, v26, 2.0, v16 op_sel_hi:[1,0,1] neg_lo:[0,0,1] neg_hi:[0,0,1]
	ds_write2_b32 v17, v18, v16 offset1:2
	v_bfi_b32 v16, s4, v51, v52
	v_pk_add_f16 v16, v27, v16 neg_lo:[0,1] neg_hi:[0,1]
	v_pk_fma_f16 v17, v27, 2.0, v16 op_sel_hi:[1,0,1] neg_lo:[0,0,1] neg_hi:[0,0,1]
	v_lshlrev_b32_e32 v27, 1, v5
	v_and_or_b32 v18, v27, s5, v41
	v_and_b32_e32 v49, 3, v15
	v_lshl_add_u32 v18, v18, 2, 0
	v_and_b32_e32 v40, 3, v9
	v_and_b32_e32 v41, 3, v10
	v_lshlrev_b32_e32 v15, 2, v49
	ds_write2_b32 v18, v17, v16 offset1:2
	s_waitcnt lgkmcnt(0)
	; wave barrier
	s_waitcnt lgkmcnt(0)
	v_lshlrev_b32_e32 v16, 2, v40
	v_lshlrev_b32_e32 v17, 2, v41
	global_load_ushort v19, v15, s[8:9] offset:8
	global_load_ushort v18, v16, s[8:9] offset:10
	;; [unrolled: 1-line block ×5, first 2 shown]
	v_and_b32_e32 v28, 3, v28
	v_lshlrev_b32_e32 v16, 2, v28
	v_and_b32_e32 v50, 3, v11
	global_load_ushort v23, v16, s[8:9] offset:10
	global_load_ushort v24, v16, s[8:9] offset:8
	v_and_b32_e32 v5, 3, v5
	v_lshlrev_b32_e32 v17, 2, v50
	v_lshlrev_b32_e32 v16, 2, v5
	global_load_ushort v25, v17, s[8:9] offset:8
	global_load_ushort v26, v16, s[8:9] offset:10
	global_load_dword v51, v16, s[8:9] offset:8
	v_and_b32_e32 v52, 3, v37
	v_lshlrev_b32_e32 v16, 2, v52
	v_and_b32_e32 v54, 3, v13
	global_load_ushort v53, v16, s[8:9] offset:8
	v_lshlrev_b32_e32 v16, 2, v54
	v_and_b32_e32 v56, 3, v14
	global_load_dword v55, v16, s[8:9] offset:8
	v_lshlrev_b32_e32 v16, 2, v56
	global_load_dword v57, v16, s[8:9] offset:8
	v_and_b32_e32 v58, 3, v0
	v_lshlrev_b32_e32 v16, 2, v58
	global_load_dword v59, v16, s[8:9] offset:8
	global_load_ushort v60, v15, s[8:9] offset:10
	global_load_ushort v61, v17, s[8:9] offset:10
	ds_read2_b32 v[15:16], v33 offset0:110 offset1:173
	s_movk_i32 s5, 0x78
	s_movk_i32 s6, 0x2f8
	s_waitcnt vmcnt(14) lgkmcnt(0)
	v_pk_mul_f16 v62, v16, v18 op_sel_hi:[1,0]
	ds_read2_b32 v[17:18], v36 offset0:106 offset1:169
	s_waitcnt vmcnt(13)
	v_pk_fma_f16 v63, v16, v20, v62 op_sel:[0,0,1] op_sel_hi:[1,1,0]
	v_pk_fma_f16 v62, v16, v20, v62 op_sel:[0,0,1] op_sel_hi:[1,0,0] neg_lo:[0,0,1] neg_hi:[0,0,1]
	s_waitcnt vmcnt(12)
	v_pk_mul_f16 v16, v15, v21 op_sel_hi:[1,0]
	s_waitcnt vmcnt(11)
	v_pk_fma_f16 v64, v15, v22, v16 op_sel:[0,0,1] op_sel_hi:[1,1,0]
	v_pk_fma_f16 v65, v15, v22, v16 op_sel:[0,0,1] op_sel_hi:[1,0,0] neg_lo:[0,0,1] neg_hi:[0,0,1]
	s_waitcnt vmcnt(10) lgkmcnt(0)
	v_pk_mul_f16 v20, v17, v23 op_sel_hi:[1,0]
	ds_read2_b32 v[15:16], v32 offset0:114 offset1:177
	s_waitcnt vmcnt(9)
	v_pk_fma_f16 v66, v17, v24, v20 op_sel:[0,0,1] op_sel_hi:[1,1,0]
	v_pk_fma_f16 v67, v17, v24, v20 op_sel:[0,0,1] op_sel_hi:[1,0,0] neg_lo:[0,0,1] neg_hi:[0,0,1]
	s_waitcnt vmcnt(7)
	v_pk_mul_f16 v17, v18, v26 op_sel_hi:[1,0]
	s_waitcnt vmcnt(6)
	v_pk_fma_f16 v68, v18, v51, v17 op_sel:[0,0,1] op_sel_hi:[1,1,0]
	v_pk_fma_f16 v69, v18, v51, v17 op_sel:[0,0,1] op_sel_hi:[1,0,0] neg_lo:[0,0,1] neg_hi:[0,0,1]
	ds_read2_b32 v[17:18], v1 offset0:116 offset1:179
	s_waitcnt lgkmcnt(1)
	v_pk_mul_f16 v20, v16, v51 op_sel:[0,1]
	s_waitcnt vmcnt(5)
	v_pk_fma_f16 v51, v16, v53, v20 op_sel:[0,0,1] op_sel_hi:[1,1,0]
	v_pk_fma_f16 v53, v16, v53, v20 op_sel:[0,0,1] op_sel_hi:[1,0,0] neg_lo:[0,0,1] neg_hi:[0,0,1]
	s_waitcnt vmcnt(4)
	v_pk_mul_f16 v16, v55, v15 op_sel:[0,1]
	v_pk_fma_f16 v70, v55, v15, v16 op_sel:[0,0,1] op_sel_hi:[1,1,0]
	v_pk_fma_f16 v55, v55, v15, v16 op_sel:[0,0,1] op_sel_hi:[1,0,0] neg_lo:[1,0,0] neg_hi:[1,0,0]
	s_waitcnt vmcnt(3) lgkmcnt(0)
	v_pk_mul_f16 v20, v57, v18 op_sel:[0,1]
	ds_read2_b32 v[15:16], v7 offset0:108 offset1:171
	v_pk_fma_f16 v71, v57, v18, v20 op_sel:[0,0,1] op_sel_hi:[1,1,0]
	v_pk_fma_f16 v57, v57, v18, v20 op_sel:[0,0,1] op_sel_hi:[1,0,0] neg_lo:[1,0,0] neg_hi:[1,0,0]
	s_waitcnt vmcnt(2)
	v_pk_mul_f16 v18, v59, v17 op_sel:[0,1]
	v_pk_fma_f16 v20, v59, v17, v18 op_sel:[0,0,1] op_sel_hi:[1,1,0]
	v_pk_fma_f16 v21, v59, v17, v18 op_sel:[0,0,1] op_sel_hi:[1,0,0] neg_lo:[1,0,0] neg_hi:[1,0,0]
	ds_read2_b32 v[17:18], v31 offset0:112 offset1:175
	s_waitcnt vmcnt(1) lgkmcnt(1)
	v_pk_mul_f16 v22, v16, v60 op_sel_hi:[1,0]
	v_pk_fma_f16 v60, v16, v19, v22 op_sel:[0,0,1] op_sel_hi:[1,1,0]
	v_pk_fma_f16 v72, v16, v19, v22 op_sel:[0,0,1] op_sel_hi:[1,0,0] neg_lo:[0,0,1] neg_hi:[0,0,1]
	v_pk_mul_f16 v16, v15, v59 op_sel:[0,1]
	v_pk_fma_f16 v73, v15, v59, v16 op_sel:[0,0,1] op_sel_hi:[1,1,0]
	v_pk_fma_f16 v74, v15, v59, v16 op_sel:[0,0,1] op_sel_hi:[1,0,0] neg_lo:[0,0,1] neg_hi:[0,0,1]
	s_waitcnt vmcnt(0) lgkmcnt(0)
	v_pk_mul_f16 v15, v18, v61 op_sel_hi:[1,0]
	v_pk_fma_f16 v61, v18, v25, v15 op_sel:[0,0,1] op_sel_hi:[1,1,0]
	v_pk_fma_f16 v75, v18, v25, v15 op_sel:[0,0,1] op_sel_hi:[1,0,0] neg_lo:[0,0,1] neg_hi:[0,0,1]
	v_pk_mul_f16 v15, v17, v59 op_sel:[0,1]
	v_pk_fma_f16 v76, v17, v59, v15 op_sel:[0,0,1] op_sel_hi:[1,1,0]
	v_pk_fma_f16 v59, v17, v59, v15 op_sel:[0,0,1] op_sel_hi:[1,0,0] neg_lo:[0,0,1] neg_hi:[0,0,1]
	ds_read2_b32 v[15:16], v30 offset1:63
	v_bfi_b32 v17, s4, v20, v21
	v_and_or_b32 v18, v4, s5, v58
	v_lshl_add_u32 v77, v18, 2, 0
	s_movk_i32 s5, 0xf8
	s_waitcnt lgkmcnt(0)
	v_pk_add_f16 v78, v15, v17 neg_lo:[0,1] neg_hi:[0,1]
	v_pk_fma_f16 v15, v15, 2.0, v78 op_sel_hi:[1,0,1] neg_lo:[0,0,1] neg_hi:[0,0,1]
	ds_read2_b32 v[17:18], v30 offset0:126 offset1:189
	ds_read2_b32 v[19:20], v6 offset0:124 offset1:187
	;; [unrolled: 1-line block ×5, first 2 shown]
	s_waitcnt lgkmcnt(0)
	; wave barrier
	s_waitcnt lgkmcnt(0)
	ds_write2_b32 v77, v15, v78 offset1:4
	v_and_or_b32 v15, v46, s5, v56
	v_bfi_b32 v46, s4, v71, v57
	v_pk_add_f16 v46, v16, v46 neg_lo:[0,1] neg_hi:[0,1]
	v_pk_fma_f16 v16, v16, 2.0, v46 op_sel_hi:[1,0,1] neg_lo:[0,0,1] neg_hi:[0,0,1]
	v_lshl_add_u32 v15, v15, 2, 0
	ds_write2_b32 v15, v16, v46 offset1:4
	s_movk_i32 s5, 0x1f8
	v_bfi_b32 v16, s4, v70, v55
	v_and_or_b32 v15, v45, s5, v54
	v_pk_add_f16 v16, v17, v16 neg_lo:[0,1] neg_hi:[0,1]
	v_lshl_add_u32 v15, v15, 2, 0
	v_pk_fma_f16 v17, v17, 2.0, v16 op_sel_hi:[1,0,1] neg_lo:[0,0,1] neg_hi:[0,0,1]
	ds_write2_b32 v15, v17, v16 offset1:4
	v_bfi_b32 v16, s4, v51, v53
	v_and_or_b32 v15, v47, s5, v52
	v_pk_add_f16 v16, v18, v16 neg_lo:[0,1] neg_hi:[0,1]
	v_pk_fma_f16 v17, v18, 2.0, v16 op_sel_hi:[1,0,1] neg_lo:[0,0,1] neg_hi:[0,0,1]
	v_lshl_add_u32 v15, v15, 2, 0
	ds_write2_b32 v15, v17, v16 offset1:4
	v_bfi_b32 v15, s4, v76, v59
	s_movk_i32 s5, 0x3f8
	v_and_or_b32 v16, v38, s5, v58
	v_pk_add_f16 v15, v19, v15 neg_lo:[0,1] neg_hi:[0,1]
	v_lshl_add_u32 v16, v16, 2, 0
	v_pk_fma_f16 v17, v19, 2.0, v15 op_sel_hi:[1,0,1] neg_lo:[0,0,1] neg_hi:[0,0,1]
	ds_write2_b32 v16, v17, v15 offset1:4
	v_bfi_b32 v16, s4, v61, v75
	v_and_or_b32 v15, v44, s6, v50
	v_pk_add_f16 v16, v20, v16 neg_lo:[0,1] neg_hi:[0,1]
	v_pk_fma_f16 v17, v20, 2.0, v16 op_sel_hi:[1,0,1] neg_lo:[0,0,1] neg_hi:[0,0,1]
	v_lshl_add_u32 v15, v15, 2, 0
	ds_write2_b32 v15, v17, v16 offset1:4
	v_bfi_b32 v16, s4, v64, v65
	v_and_or_b32 v15, v39, s5, v41
	v_pk_add_f16 v16, v21, v16 neg_lo:[0,1] neg_hi:[0,1]
	v_lshl_add_u32 v15, v15, 2, 0
	v_pk_fma_f16 v17, v21, 2.0, v16 op_sel_hi:[1,0,1] neg_lo:[0,0,1] neg_hi:[0,0,1]
	ds_write2_b32 v15, v17, v16 offset1:4
	v_bfi_b32 v16, s4, v63, v62
	v_and_or_b32 v15, v48, s5, v40
	v_pk_add_f16 v16, v22, v16 neg_lo:[0,1] neg_hi:[0,1]
	v_pk_fma_f16 v17, v22, 2.0, v16 op_sel_hi:[1,0,1] neg_lo:[0,0,1] neg_hi:[0,0,1]
	v_lshl_add_u32 v15, v15, 2, 0
	ds_write2_b32 v15, v17, v16 offset1:4
	s_movk_i32 s5, 0x7f8
	v_bfi_b32 v16, s4, v73, v74
	v_and_or_b32 v15, v29, s5, v58
	v_pk_add_f16 v16, v23, v16 neg_lo:[0,1] neg_hi:[0,1]
	v_lshl_add_u32 v15, v15, 2, 0
	v_pk_fma_f16 v17, v23, 2.0, v16 op_sel_hi:[1,0,1] neg_lo:[0,0,1] neg_hi:[0,0,1]
	ds_write2_b32 v15, v17, v16 offset1:4
	s_movk_i32 s5, 0x4f8
	v_bfi_b32 v16, s4, v60, v72
	v_and_or_b32 v15, v43, s5, v49
	v_pk_add_f16 v16, v24, v16 neg_lo:[0,1] neg_hi:[0,1]
	v_pk_fma_f16 v17, v24, 2.0, v16 op_sel_hi:[1,0,1] neg_lo:[0,0,1] neg_hi:[0,0,1]
	v_lshl_add_u32 v15, v15, 2, 0
	ds_write2_b32 v15, v17, v16 offset1:4
	s_movk_i32 s5, 0x5f8
	v_bfi_b32 v16, s4, v66, v67
	v_and_or_b32 v15, v42, s5, v28
	v_pk_add_f16 v16, v25, v16 neg_lo:[0,1] neg_hi:[0,1]
	v_lshl_add_u32 v15, v15, 2, 0
	v_pk_fma_f16 v17, v25, 2.0, v16 op_sel_hi:[1,0,1] neg_lo:[0,0,1] neg_hi:[0,0,1]
	ds_write2_b32 v15, v17, v16 offset1:4
	v_bfi_b32 v15, s4, v68, v69
	v_and_or_b32 v5, v27, s5, v5
	v_pk_add_f16 v15, v26, v15 neg_lo:[0,1] neg_hi:[0,1]
	v_pk_fma_f16 v16, v26, 2.0, v15 op_sel_hi:[1,0,1] neg_lo:[0,0,1] neg_hi:[0,0,1]
	v_lshl_add_u32 v5, v5, 2, 0
	ds_write2_b32 v5, v16, v15 offset1:4
	v_and_b32_e32 v5, 7, v0
	v_lshlrev_b32_e32 v15, 3, v5
	s_waitcnt lgkmcnt(0)
	; wave barrier
	s_waitcnt lgkmcnt(0)
	global_load_dwordx2 v[15:16], v15, s[8:9] offset:24
	v_and_b32_e32 v29, 7, v14
	v_lshlrev_b32_e32 v17, 3, v29
	global_load_dwordx2 v[17:18], v17, s[8:9] offset:24
	v_and_b32_e32 v44, 7, v13
	v_lshlrev_b32_e32 v19, 3, v44
	;; [unrolled: 3-line block ×7, first 2 shown]
	global_load_dwordx2 v[40:41], v40, s[8:9] offset:24
	ds_read2_b32 v[38:39], v8 offset0:120 offset1:183
	ds_read2_b32 v[42:43], v31 offset0:112 offset1:175
	s_mov_b32 s4, 0xbaee
	s_movk_i32 s5, 0x3aee
	s_movk_i32 s6, 0xab
	s_waitcnt lgkmcnt(1)
	v_lshrrev_b32_e32 v50, 16, v38
	s_waitcnt vmcnt(7)
	v_mul_f16_sdwa v51, v15, v38 dst_sel:DWORD dst_unused:UNUSED_PAD src0_sel:WORD_1 src1_sel:DWORD
	v_fma_f16 v51, v15, v50, -v51
	v_mul_f16_sdwa v50, v15, v50 dst_sel:DWORD dst_unused:UNUSED_PAD src0_sel:WORD_1 src1_sel:DWORD
	v_fma_f16 v38, v15, v38, v50
	s_waitcnt lgkmcnt(0)
	v_lshrrev_b32_e32 v15, 16, v42
	v_mul_f16_sdwa v50, v16, v42 dst_sel:DWORD dst_unused:UNUSED_PAD src0_sel:WORD_1 src1_sel:DWORD
	v_fma_f16 v50, v16, v15, -v50
	v_mul_f16_sdwa v15, v16, v15 dst_sel:DWORD dst_unused:UNUSED_PAD src0_sel:WORD_1 src1_sel:DWORD
	v_fma_f16 v42, v16, v42, v15
	v_lshrrev_b32_e32 v15, 16, v39
	s_waitcnt vmcnt(6)
	v_mul_f16_sdwa v16, v17, v15 dst_sel:DWORD dst_unused:UNUSED_PAD src0_sel:WORD_1 src1_sel:DWORD
	v_fma_f16 v52, v17, v39, v16
	v_mul_f16_sdwa v16, v17, v39 dst_sel:DWORD dst_unused:UNUSED_PAD src0_sel:WORD_1 src1_sel:DWORD
	v_fma_f16 v39, v17, v15, -v16
	v_lshrrev_b32_e32 v17, 16, v43
	ds_read2_b32 v[15:16], v35 offset0:118 offset1:181
	v_mul_f16_sdwa v53, v17, v18 dst_sel:DWORD dst_unused:UNUSED_PAD src0_sel:DWORD src1_sel:WORD_1
	v_fma_f16 v53, v43, v18, v53
	v_mul_f16_sdwa v43, v43, v18 dst_sel:DWORD dst_unused:UNUSED_PAD src0_sel:DWORD src1_sel:WORD_1
	v_fma_f16 v43, v17, v18, -v43
	ds_read2_b32 v[17:18], v33 offset0:110 offset1:173
	s_waitcnt lgkmcnt(1)
	v_lshrrev_b32_e32 v54, 16, v15
	s_waitcnt vmcnt(5)
	v_mul_f16_sdwa v55, v15, v19 dst_sel:DWORD dst_unused:UNUSED_PAD src0_sel:DWORD src1_sel:WORD_1
	v_fma_f16 v55, v54, v19, -v55
	v_mul_f16_sdwa v54, v54, v19 dst_sel:DWORD dst_unused:UNUSED_PAD src0_sel:DWORD src1_sel:WORD_1
	v_fma_f16 v54, v15, v19, v54
	s_waitcnt lgkmcnt(0)
	v_lshrrev_b32_e32 v15, 16, v17
	v_mul_f16_sdwa v19, v17, v20 dst_sel:DWORD dst_unused:UNUSED_PAD src0_sel:DWORD src1_sel:WORD_1
	v_fma_f16 v56, v15, v20, -v19
	v_mul_f16_sdwa v15, v15, v20 dst_sel:DWORD dst_unused:UNUSED_PAD src0_sel:DWORD src1_sel:WORD_1
	v_fma_f16 v57, v17, v20, v15
	v_lshrrev_b32_e32 v15, 16, v16
	s_waitcnt vmcnt(4)
	v_mul_f16_sdwa v17, v15, v21 dst_sel:DWORD dst_unused:UNUSED_PAD src0_sel:DWORD src1_sel:WORD_1
	v_fma_f16 v58, v16, v21, v17
	v_mul_f16_sdwa v16, v16, v21 dst_sel:DWORD dst_unused:UNUSED_PAD src0_sel:DWORD src1_sel:WORD_1
	v_lshrrev_b32_e32 v17, 16, v18
	v_fma_f16 v59, v15, v21, -v16
	ds_read2_b32 v[15:16], v1 offset0:116 offset1:179
	v_mul_f16_sdwa v19, v17, v22 dst_sel:DWORD dst_unused:UNUSED_PAD src0_sel:DWORD src1_sel:WORD_1
	v_fma_f16 v60, v18, v22, v19
	v_mul_f16_sdwa v18, v18, v22 dst_sel:DWORD dst_unused:UNUSED_PAD src0_sel:DWORD src1_sel:WORD_1
	v_fma_f16 v61, v17, v22, -v18
	ds_read2_b32 v[17:18], v7 offset0:108 offset1:171
	s_waitcnt lgkmcnt(1)
	v_lshrrev_b32_e32 v19, 16, v15
	s_waitcnt vmcnt(3)
	v_mul_f16_sdwa v20, v15, v23 dst_sel:DWORD dst_unused:UNUSED_PAD src0_sel:DWORD src1_sel:WORD_1
	v_fma_f16 v62, v19, v23, -v20
	v_mul_f16_sdwa v19, v19, v23 dst_sel:DWORD dst_unused:UNUSED_PAD src0_sel:DWORD src1_sel:WORD_1
	v_fma_f16 v23, v15, v23, v19
	s_waitcnt lgkmcnt(0)
	v_lshrrev_b32_e32 v15, 16, v17
	v_mul_f16_sdwa v19, v17, v24 dst_sel:DWORD dst_unused:UNUSED_PAD src0_sel:DWORD src1_sel:WORD_1
	v_fma_f16 v63, v15, v24, -v19
	v_mul_f16_sdwa v15, v15, v24 dst_sel:DWORD dst_unused:UNUSED_PAD src0_sel:DWORD src1_sel:WORD_1
	v_fma_f16 v24, v17, v24, v15
	v_lshrrev_b32_e32 v15, 16, v16
	s_waitcnt vmcnt(2)
	v_mul_f16_sdwa v17, v15, v25 dst_sel:DWORD dst_unused:UNUSED_PAD src0_sel:DWORD src1_sel:WORD_1
	v_fma_f16 v64, v16, v25, v17
	v_mul_f16_sdwa v16, v16, v25 dst_sel:DWORD dst_unused:UNUSED_PAD src0_sel:DWORD src1_sel:WORD_1
	v_lshrrev_b32_e32 v17, 16, v18
	v_fma_f16 v25, v15, v25, -v16
	ds_read2_b32 v[15:16], v32 offset0:114 offset1:177
	v_mul_f16_sdwa v19, v17, v26 dst_sel:DWORD dst_unused:UNUSED_PAD src0_sel:DWORD src1_sel:WORD_1
	v_fma_f16 v65, v18, v26, v19
	v_mul_f16_sdwa v18, v18, v26 dst_sel:DWORD dst_unused:UNUSED_PAD src0_sel:DWORD src1_sel:WORD_1
	v_fma_f16 v26, v17, v26, -v18
	ds_read2_b32 v[17:18], v36 offset0:106 offset1:169
	s_waitcnt lgkmcnt(1)
	v_lshrrev_b32_e32 v19, 16, v15
	s_waitcnt vmcnt(1)
	v_mul_f16_sdwa v20, v15, v27 dst_sel:DWORD dst_unused:UNUSED_PAD src0_sel:DWORD src1_sel:WORD_1
	v_fma_f16 v66, v19, v27, -v20
	v_mul_f16_sdwa v19, v19, v27 dst_sel:DWORD dst_unused:UNUSED_PAD src0_sel:DWORD src1_sel:WORD_1
	v_fma_f16 v27, v15, v27, v19
	s_waitcnt lgkmcnt(0)
	v_lshrrev_b32_e32 v15, 16, v17
	v_mul_f16_sdwa v19, v17, v28 dst_sel:DWORD dst_unused:UNUSED_PAD src0_sel:DWORD src1_sel:WORD_1
	v_fma_f16 v67, v15, v28, -v19
	v_mul_f16_sdwa v15, v15, v28 dst_sel:DWORD dst_unused:UNUSED_PAD src0_sel:DWORD src1_sel:WORD_1
	v_fma_f16 v28, v17, v28, v15
	v_lshrrev_b32_e32 v15, 16, v16
	s_waitcnt vmcnt(0)
	v_mul_f16_sdwa v17, v15, v40 dst_sel:DWORD dst_unused:UNUSED_PAD src0_sel:DWORD src1_sel:WORD_1
	v_fma_f16 v68, v16, v40, v17
	v_mul_f16_sdwa v16, v16, v40 dst_sel:DWORD dst_unused:UNUSED_PAD src0_sel:DWORD src1_sel:WORD_1
	v_fma_f16 v40, v15, v40, -v16
	ds_read2_b32 v[15:16], v30 offset1:63
	v_lshrrev_b32_e32 v17, 16, v18
	v_mul_f16_sdwa v19, v17, v41 dst_sel:DWORD dst_unused:UNUSED_PAD src0_sel:DWORD src1_sel:WORD_1
	v_fma_f16 v69, v18, v41, v19
	v_mul_f16_sdwa v18, v18, v41 dst_sel:DWORD dst_unused:UNUSED_PAD src0_sel:DWORD src1_sel:WORD_1
	v_fma_f16 v41, v17, v41, -v18
	s_waitcnt lgkmcnt(0)
	v_lshrrev_b32_e32 v17, 16, v15
	v_add_f16_e32 v18, v17, v51
	v_add_f16_e32 v19, v51, v50
	;; [unrolled: 1-line block ×3, first 2 shown]
	v_sub_f16_e32 v70, v51, v50
	v_fma_f16 v50, v19, -0.5, v17
	v_add_f16_e32 v17, v15, v38
	v_add_f16_e32 v19, v38, v42
	v_lshrrev_b32_e32 v20, 3, v0
	v_add_f16_e32 v17, v17, v42
	v_sub_f16_e32 v38, v38, v42
	v_mul_u32_u24_e32 v20, 24, v20
	v_fma_f16 v15, v19, -0.5, v15
	v_or_b32_e32 v5, v20, v5
	v_pack_b32_f16 v42, v17, v18
	v_fma_f16 v17, v70, s4, v15
	v_fma_f16 v18, v38, s5, v50
	v_fma_f16 v15, v70, s5, v15
	v_fma_f16 v38, v38, s4, v50
	v_lshl_add_u32 v5, v5, 2, 0
	v_pack_b32_f16 v15, v15, v38
	v_pack_b32_f16 v51, v17, v18
	ds_read2_b32 v[17:18], v30 offset0:126 offset1:189
	ds_read2_b32 v[19:20], v6 offset0:124 offset1:187
	;; [unrolled: 1-line block ×3, first 2 shown]
	s_waitcnt lgkmcnt(0)
	; wave barrier
	s_waitcnt lgkmcnt(0)
	ds_write_b32 v5, v15 offset:64
	v_lshrrev_b32_e32 v15, 16, v16
	ds_write2_b32 v5, v42, v51 offset1:8
	v_add_f16_e32 v5, v52, v53
	v_add_f16_e32 v38, v15, v39
	v_fma_f16 v5, v5, -0.5, v16
	v_add_f16_e32 v16, v16, v52
	v_add_f16_e32 v38, v38, v43
	v_sub_f16_e32 v42, v39, v43
	v_add_f16_e32 v39, v39, v43
	v_lshrrev_b32_e32 v43, 3, v14
	v_fma_f16 v15, v39, -0.5, v15
	v_add_f16_e32 v16, v16, v53
	v_sub_f16_e32 v39, v52, v53
	v_mul_u32_u24_e32 v43, 24, v43
	v_or_b32_e32 v29, v43, v29
	v_pack_b32_f16 v16, v16, v38
	v_fma_f16 v38, v42, s4, v5
	v_fma_f16 v43, v39, s5, v15
	v_fma_f16 v5, v42, s5, v5
	v_fma_f16 v15, v39, s4, v15
	v_pack_b32_f16 v38, v38, v43
	v_lshl_add_u32 v29, v29, 2, 0
	v_pack_b32_f16 v5, v5, v15
	ds_write2_b32 v29, v16, v38 offset1:8
	ds_write_b32 v29, v5 offset:64
	v_lshrrev_b32_e32 v5, 16, v17
	v_add_f16_e32 v29, v55, v56
	v_add_f16_e32 v15, v5, v55
	v_fma_f16 v5, v29, -0.5, v5
	v_add_f16_e32 v29, v17, v54
	v_add_f16_e32 v38, v54, v57
	v_lshrrev_b32_e32 v42, 3, v13
	v_add_f16_e32 v15, v15, v56
	v_sub_f16_e32 v16, v55, v56
	v_add_f16_e32 v29, v29, v57
	v_sub_f16_e32 v39, v54, v57
	v_mul_u32_u24_e32 v42, 24, v42
	v_fma_f16 v17, v38, -0.5, v17
	v_or_b32_e32 v42, v42, v44
	v_pack_b32_f16 v15, v29, v15
	v_fma_f16 v29, v16, s4, v17
	v_fma_f16 v38, v39, s5, v5
	v_pack_b32_f16 v29, v29, v38
	v_lshl_add_u32 v38, v42, 2, 0
	ds_write2_b32 v38, v15, v29 offset1:8
	v_fma_f16 v15, v16, s5, v17
	v_fma_f16 v5, v39, s4, v5
	v_pack_b32_f16 v5, v15, v5
	v_lshrrev_b32_e32 v15, 16, v18
	ds_write_b32 v38, v5 offset:64
	v_add_f16_e32 v5, v58, v60
	v_add_f16_e32 v16, v18, v58
	;; [unrolled: 1-line block ×4, first 2 shown]
	v_lshrrev_b32_e32 v38, 3, v37
	v_fma_f16 v5, v5, -0.5, v18
	v_add_f16_e32 v17, v17, v61
	v_sub_f16_e32 v18, v59, v61
	v_fma_f16 v15, v29, -0.5, v15
	v_add_f16_e32 v16, v16, v60
	v_sub_f16_e32 v29, v58, v60
	v_mul_u32_u24_e32 v38, 24, v38
	v_or_b32_e32 v38, v38, v45
	v_pack_b32_f16 v16, v16, v17
	v_fma_f16 v17, v18, s4, v5
	v_fma_f16 v39, v29, s5, v15
	;; [unrolled: 1-line block ×4, first 2 shown]
	v_pack_b32_f16 v17, v17, v39
	v_lshl_add_u32 v38, v38, 2, 0
	v_pack_b32_f16 v5, v5, v15
	ds_write2_b32 v38, v16, v17 offset1:8
	ds_write_b32 v38, v5 offset:64
	v_lshrrev_b32_e32 v5, 16, v19
	v_add_f16_e32 v17, v62, v63
	v_add_f16_e32 v15, v5, v62
	v_fma_f16 v5, v17, -0.5, v5
	v_add_f16_e32 v17, v19, v23
	v_add_f16_e32 v15, v15, v63
	;; [unrolled: 1-line block ×4, first 2 shown]
	v_sub_f16_e32 v23, v23, v24
	v_lshrrev_b32_e32 v24, 3, v12
	v_sub_f16_e32 v16, v62, v63
	v_mul_u32_u24_e32 v24, 24, v24
	v_pack_b32_f16 v15, v17, v15
	v_fma_f16 v17, v18, -0.5, v19
	v_or_b32_e32 v24, v24, v46
	v_fma_f16 v18, v16, s4, v17
	v_fma_f16 v19, v23, s5, v5
	v_pack_b32_f16 v18, v18, v19
	v_lshl_add_u32 v19, v24, 2, 0
	ds_write2_b32 v19, v15, v18 offset1:8
	v_fma_f16 v15, v16, s5, v17
	v_fma_f16 v5, v23, s4, v5
	v_pack_b32_f16 v5, v15, v5
	ds_write_b32 v19, v5 offset:64
	v_add_f16_e32 v5, v64, v65
	v_lshrrev_b32_e32 v15, 16, v20
	v_fma_f16 v5, v5, -0.5, v20
	v_add_f16_e32 v16, v20, v64
	v_add_f16_e32 v17, v15, v25
	;; [unrolled: 1-line block ×3, first 2 shown]
	v_lshrrev_b32_e32 v20, 3, v11
	v_add_f16_e32 v17, v17, v26
	v_sub_f16_e32 v18, v25, v26
	v_fma_f16 v15, v19, -0.5, v15
	v_add_f16_e32 v16, v16, v65
	v_sub_f16_e32 v19, v64, v65
	v_mul_u32_u24_e32 v20, 24, v20
	v_or_b32_e32 v20, v20, v47
	v_pack_b32_f16 v16, v16, v17
	v_fma_f16 v17, v18, s4, v5
	v_fma_f16 v23, v19, s5, v15
	;; [unrolled: 1-line block ×4, first 2 shown]
	v_pack_b32_f16 v17, v17, v23
	v_lshl_add_u32 v20, v20, 2, 0
	v_pack_b32_f16 v5, v5, v15
	ds_write2_b32 v20, v16, v17 offset1:8
	ds_write_b32 v20, v5 offset:64
	v_lshrrev_b32_e32 v5, 16, v21
	v_add_f16_e32 v17, v66, v67
	v_add_f16_e32 v15, v5, v66
	v_fma_f16 v5, v17, -0.5, v5
	v_add_f16_e32 v17, v21, v27
	v_add_f16_e32 v15, v15, v67
	;; [unrolled: 1-line block ×4, first 2 shown]
	v_lshrrev_b32_e32 v20, 3, v10
	v_sub_f16_e32 v16, v66, v67
	v_sub_f16_e32 v19, v27, v28
	v_mul_u32_u24_e32 v20, 24, v20
	v_pack_b32_f16 v15, v17, v15
	v_fma_f16 v17, v18, -0.5, v21
	v_or_b32_e32 v20, v20, v48
	v_fma_f16 v18, v16, s4, v17
	v_fma_f16 v21, v19, s5, v5
	v_pack_b32_f16 v18, v18, v21
	v_lshl_add_u32 v20, v20, 2, 0
	ds_write2_b32 v20, v15, v18 offset1:8
	v_fma_f16 v15, v16, s5, v17
	v_fma_f16 v5, v19, s4, v5
	v_pack_b32_f16 v5, v15, v5
	v_lshrrev_b32_e32 v15, 16, v22
	ds_write_b32 v20, v5 offset:64
	v_add_f16_e32 v5, v68, v69
	v_add_f16_e32 v16, v22, v68
	;; [unrolled: 1-line block ×4, first 2 shown]
	v_lshrrev_b32_e32 v20, 3, v9
	v_fma_f16 v5, v5, -0.5, v22
	v_add_f16_e32 v17, v17, v41
	v_sub_f16_e32 v18, v40, v41
	v_fma_f16 v15, v19, -0.5, v15
	v_add_f16_e32 v16, v16, v69
	v_sub_f16_e32 v19, v68, v69
	v_mul_u32_u24_e32 v20, 24, v20
	v_or_b32_e32 v20, v20, v49
	v_pack_b32_f16 v16, v16, v17
	v_fma_f16 v17, v18, s4, v5
	v_fma_f16 v21, v19, s5, v15
	;; [unrolled: 1-line block ×4, first 2 shown]
	v_lshl_add_u32 v20, v20, 2, 0
	v_pack_b32_f16 v5, v5, v15
	v_pack_b32_f16 v17, v17, v21
	ds_write_b32 v20, v5 offset:64
	v_mul_lo_u16_sdwa v5, v0, s6 dst_sel:DWORD dst_unused:UNUSED_PAD src0_sel:BYTE_0 src1_sel:DWORD
	ds_write2_b32 v20, v16, v17 offset1:8
	v_lshrrev_b16_e32 v16, 12, v5
	v_mul_lo_u16_e32 v5, 24, v16
	v_sub_u16_e32 v19, v0, v5
	v_mov_b32_e32 v15, 3
	v_lshlrev_b32_sdwa v5, v15, v19 dst_sel:DWORD dst_unused:UNUSED_PAD src0_sel:DWORD src1_sel:BYTE_0
	s_waitcnt lgkmcnt(0)
	; wave barrier
	s_waitcnt lgkmcnt(0)
	global_load_dwordx2 v[40:41], v5, s[8:9] offset:88
	v_mul_lo_u16_sdwa v5, v14, s6 dst_sel:DWORD dst_unused:UNUSED_PAD src0_sel:BYTE_0 src1_sel:DWORD
	v_lshrrev_b16_e32 v22, 12, v5
	v_mul_lo_u16_e32 v5, 24, v22
	v_sub_u16_e32 v23, v14, v5
	v_lshlrev_b32_sdwa v5, v15, v23 dst_sel:DWORD dst_unused:UNUSED_PAD src0_sel:DWORD src1_sel:BYTE_0
	global_load_dwordx2 v[42:43], v5, s[8:9] offset:88
	v_mul_lo_u16_sdwa v5, v13, s6 dst_sel:DWORD dst_unused:UNUSED_PAD src0_sel:BYTE_0 src1_sel:DWORD
	v_lshrrev_b16_e32 v20, 12, v5
	v_mul_lo_u16_e32 v5, 24, v20
	v_sub_u16_e32 v21, v13, v5
	v_lshlrev_b32_sdwa v5, v15, v21 dst_sel:DWORD dst_unused:UNUSED_PAD src0_sel:DWORD src1_sel:BYTE_0
	;; [unrolled: 6-line block ×3, first 2 shown]
	global_load_dwordx2 v[46:47], v5, s[8:9] offset:88
	s_mov_b32 s6, 0xaaab
	v_mul_u32_u24_sdwa v5, v12, s6 dst_sel:DWORD dst_unused:UNUSED_PAD src0_sel:WORD_0 src1_sel:DWORD
	v_lshrrev_b32_e32 v24, 20, v5
	v_mul_lo_u16_e32 v5, 24, v24
	v_sub_u16_e32 v25, v12, v5
	v_lshlrev_b32_e32 v5, 3, v25
	global_load_dwordx2 v[48:49], v5, s[8:9] offset:88
	v_mul_u32_u24_sdwa v5, v11, s6 dst_sel:DWORD dst_unused:UNUSED_PAD src0_sel:WORD_0 src1_sel:DWORD
	v_lshrrev_b32_e32 v38, 20, v5
	v_mul_lo_u16_e32 v5, 24, v38
	v_sub_u16_e32 v39, v11, v5
	v_lshlrev_b32_e32 v5, 3, v39
	global_load_dwordx2 v[50:51], v5, s[8:9] offset:88
	;; [unrolled: 6-line block ×4, first 2 shown]
	ds_read2_b32 v[54:55], v8 offset0:120 offset1:183
	ds_read2_b32 v[58:59], v31 offset0:112 offset1:175
	v_mul_u32_u24_e32 v22, 0x120, v22
	v_mul_u32_u24_e32 v20, 0x120, v20
	v_mul_u32_u24_e32 v17, 0x120, v17
	s_waitcnt lgkmcnt(1)
	v_lshrrev_b32_e32 v5, 16, v54
	s_mov_b32 s6, 0xe38f
	s_waitcnt vmcnt(7)
	v_mul_f16_sdwa v60, v40, v54 dst_sel:DWORD dst_unused:UNUSED_PAD src0_sel:WORD_1 src1_sel:DWORD
	v_fma_f16 v60, v40, v5, -v60
	v_mul_f16_sdwa v5, v40, v5 dst_sel:DWORD dst_unused:UNUSED_PAD src0_sel:WORD_1 src1_sel:DWORD
	v_fma_f16 v54, v40, v54, v5
	s_waitcnt lgkmcnt(0)
	v_lshrrev_b32_e32 v5, 16, v58
	v_mul_f16_sdwa v40, v41, v58 dst_sel:DWORD dst_unused:UNUSED_PAD src0_sel:WORD_1 src1_sel:DWORD
	v_fma_f16 v61, v41, v5, -v40
	v_mul_f16_sdwa v5, v41, v5 dst_sel:DWORD dst_unused:UNUSED_PAD src0_sel:WORD_1 src1_sel:DWORD
	v_fma_f16 v58, v41, v58, v5
	v_lshrrev_b32_e32 v5, 16, v55
	s_waitcnt vmcnt(6)
	v_mul_f16_sdwa v40, v42, v5 dst_sel:DWORD dst_unused:UNUSED_PAD src0_sel:WORD_1 src1_sel:DWORD
	v_fma_f16 v62, v42, v55, v40
	v_mul_f16_sdwa v40, v42, v55 dst_sel:DWORD dst_unused:UNUSED_PAD src0_sel:WORD_1 src1_sel:DWORD
	v_fma_f16 v55, v42, v5, -v40
	v_lshrrev_b32_e32 v5, 16, v59
	ds_read2_b32 v[40:41], v35 offset0:118 offset1:181
	v_mul_f16_sdwa v42, v5, v43 dst_sel:DWORD dst_unused:UNUSED_PAD src0_sel:DWORD src1_sel:WORD_1
	v_fma_f16 v63, v59, v43, v42
	v_mul_f16_sdwa v42, v59, v43 dst_sel:DWORD dst_unused:UNUSED_PAD src0_sel:DWORD src1_sel:WORD_1
	v_fma_f16 v59, v5, v43, -v42
	ds_read2_b32 v[42:43], v33 offset0:110 offset1:173
	s_waitcnt lgkmcnt(1)
	v_lshrrev_b32_e32 v5, 16, v40
	s_waitcnt vmcnt(5)
	v_mul_f16_sdwa v64, v40, v44 dst_sel:DWORD dst_unused:UNUSED_PAD src0_sel:DWORD src1_sel:WORD_1
	v_fma_f16 v64, v5, v44, -v64
	v_mul_f16_sdwa v5, v5, v44 dst_sel:DWORD dst_unused:UNUSED_PAD src0_sel:DWORD src1_sel:WORD_1
	v_fma_f16 v65, v40, v44, v5
	s_waitcnt lgkmcnt(0)
	v_lshrrev_b32_e32 v5, 16, v42
	v_mul_f16_sdwa v40, v42, v45 dst_sel:DWORD dst_unused:UNUSED_PAD src0_sel:DWORD src1_sel:WORD_1
	v_fma_f16 v66, v5, v45, -v40
	v_mul_f16_sdwa v5, v5, v45 dst_sel:DWORD dst_unused:UNUSED_PAD src0_sel:DWORD src1_sel:WORD_1
	v_fma_f16 v67, v42, v45, v5
	v_lshrrev_b32_e32 v5, 16, v41
	s_waitcnt vmcnt(4)
	v_mul_f16_sdwa v40, v5, v46 dst_sel:DWORD dst_unused:UNUSED_PAD src0_sel:DWORD src1_sel:WORD_1
	v_fma_f16 v68, v41, v46, v40
	v_mul_f16_sdwa v40, v41, v46 dst_sel:DWORD dst_unused:UNUSED_PAD src0_sel:DWORD src1_sel:WORD_1
	v_fma_f16 v69, v5, v46, -v40
	v_lshrrev_b32_e32 v5, 16, v43
	ds_read2_b32 v[40:41], v1 offset0:116 offset1:179
	v_mul_f16_sdwa v42, v5, v47 dst_sel:DWORD dst_unused:UNUSED_PAD src0_sel:DWORD src1_sel:WORD_1
	v_fma_f16 v70, v43, v47, v42
	v_mul_f16_sdwa v42, v43, v47 dst_sel:DWORD dst_unused:UNUSED_PAD src0_sel:DWORD src1_sel:WORD_1
	v_fma_f16 v71, v5, v47, -v42
	ds_read2_b32 v[42:43], v7 offset0:108 offset1:171
	s_waitcnt lgkmcnt(1)
	v_lshrrev_b32_e32 v5, 16, v40
	s_waitcnt vmcnt(3)
	v_mul_f16_sdwa v44, v40, v48 dst_sel:DWORD dst_unused:UNUSED_PAD src0_sel:DWORD src1_sel:WORD_1
	v_fma_f16 v72, v5, v48, -v44
	v_mul_f16_sdwa v5, v5, v48 dst_sel:DWORD dst_unused:UNUSED_PAD src0_sel:DWORD src1_sel:WORD_1
	v_fma_f16 v73, v40, v48, v5
	s_waitcnt lgkmcnt(0)
	v_lshrrev_b32_e32 v5, 16, v42
	v_mul_f16_sdwa v40, v42, v49 dst_sel:DWORD dst_unused:UNUSED_PAD src0_sel:DWORD src1_sel:WORD_1
	v_fma_f16 v74, v5, v49, -v40
	v_mul_f16_sdwa v5, v5, v49 dst_sel:DWORD dst_unused:UNUSED_PAD src0_sel:DWORD src1_sel:WORD_1
	v_fma_f16 v75, v42, v49, v5
	v_lshrrev_b32_e32 v5, 16, v41
	s_waitcnt vmcnt(2)
	v_mul_f16_sdwa v40, v5, v50 dst_sel:DWORD dst_unused:UNUSED_PAD src0_sel:DWORD src1_sel:WORD_1
	v_fma_f16 v76, v41, v50, v40
	v_mul_f16_sdwa v40, v41, v50 dst_sel:DWORD dst_unused:UNUSED_PAD src0_sel:DWORD src1_sel:WORD_1
	;; [unrolled: 26-line block ×3, first 2 shown]
	v_fma_f16 v56, v5, v56, -v40
	v_lshrrev_b32_e32 v5, 16, v43
	v_mul_f16_sdwa v40, v5, v57 dst_sel:DWORD dst_unused:UNUSED_PAD src0_sel:DWORD src1_sel:WORD_1
	v_fma_f16 v81, v43, v57, v40
	v_mul_f16_sdwa v40, v43, v57 dst_sel:DWORD dst_unused:UNUSED_PAD src0_sel:DWORD src1_sel:WORD_1
	ds_read2_b32 v[42:43], v30 offset1:63
	v_fma_f16 v57, v5, v57, -v40
	v_mov_b32_e32 v5, 0
	v_lshlrev_b64 v[40:41], 2, v[4:5]
	v_add_f16_e32 v45, v60, v61
	s_waitcnt lgkmcnt(0)
	v_lshrrev_b32_e32 v4, 16, v42
	v_add_f16_e32 v44, v4, v60
	v_fma_f16 v4, v45, -0.5, v4
	v_add_f16_e32 v45, v42, v54
	v_add_f16_e32 v46, v54, v58
	;; [unrolled: 1-line block ×3, first 2 shown]
	v_sub_f16_e32 v83, v60, v61
	v_add_f16_e32 v45, v45, v58
	v_sub_f16_e32 v54, v54, v58
	v_mul_u32_u24_e32 v47, 0x120, v16
	v_mov_b32_e32 v16, 2
	v_fma_f16 v42, v46, -0.5, v42
	v_lshlrev_b32_sdwa v19, v16, v19 dst_sel:DWORD dst_unused:UNUSED_PAD src0_sel:DWORD src1_sel:BYTE_0
	v_pack_b32_f16 v58, v45, v44
	v_fma_f16 v44, v83, s4, v42
	v_fma_f16 v45, v54, s5, v4
	;; [unrolled: 1-line block ×4, first 2 shown]
	v_add3_u32 v19, 0, v47, v19
	v_pack_b32_f16 v60, v44, v45
	v_pack_b32_f16 v4, v42, v4
	ds_read2_b32 v[44:45], v30 offset0:126 offset1:189
	ds_read2_b32 v[46:47], v6 offset0:124 offset1:187
	;; [unrolled: 1-line block ×3, first 2 shown]
	s_waitcnt lgkmcnt(0)
	; wave barrier
	s_waitcnt lgkmcnt(0)
	ds_write2_b32 v19, v58, v60 offset1:24
	ds_write_b32 v19, v4 offset:192
	v_add_f16_e32 v4, v62, v63
	v_lshrrev_b32_e32 v19, 16, v43
	v_fma_f16 v4, v4, -0.5, v43
	v_add_f16_e32 v42, v43, v62
	v_add_f16_e32 v43, v19, v55
	v_sub_f16_e32 v54, v55, v59
	v_add_f16_e32 v55, v55, v59
	v_add_f16_e32 v43, v43, v59
	v_fma_f16 v19, v55, -0.5, v19
	v_add_f16_e32 v42, v42, v63
	v_sub_f16_e32 v55, v62, v63
	v_lshlrev_b32_sdwa v23, v16, v23 dst_sel:DWORD dst_unused:UNUSED_PAD src0_sel:DWORD src1_sel:BYTE_0
	v_add3_u32 v22, 0, v22, v23
	v_pack_b32_f16 v23, v42, v43
	v_fma_f16 v42, v54, s4, v4
	v_fma_f16 v43, v55, s5, v19
	;; [unrolled: 1-line block ×4, first 2 shown]
	v_pack_b32_f16 v42, v42, v43
	v_pack_b32_f16 v4, v4, v19
	ds_write2_b32 v22, v23, v42 offset1:24
	ds_write_b32 v22, v4 offset:192
	v_lshrrev_b32_e32 v4, 16, v44
	v_add_f16_e32 v23, v64, v66
	v_add_f16_e32 v19, v4, v64
	v_fma_f16 v4, v23, -0.5, v4
	v_add_f16_e32 v23, v44, v65
	v_add_f16_e32 v42, v65, v67
	v_lshlrev_b32_sdwa v21, v16, v21 dst_sel:DWORD dst_unused:UNUSED_PAD src0_sel:DWORD src1_sel:BYTE_0
	v_add_f16_e32 v19, v19, v66
	v_sub_f16_e32 v22, v64, v66
	v_add_f16_e32 v23, v23, v67
	v_sub_f16_e32 v43, v65, v67
	v_add3_u32 v20, 0, v20, v21
	v_fma_f16 v21, v42, -0.5, v44
	v_pack_b32_f16 v19, v23, v19
	v_fma_f16 v23, v22, s4, v21
	v_fma_f16 v42, v43, s5, v4
	v_pack_b32_f16 v23, v23, v42
	ds_write2_b32 v20, v19, v23 offset1:24
	v_fma_f16 v19, v22, s5, v21
	v_fma_f16 v4, v43, s4, v4
	v_pack_b32_f16 v4, v19, v4
	v_lshrrev_b32_e32 v19, 16, v45
	ds_write_b32 v20, v4 offset:192
	v_add_f16_e32 v4, v68, v70
	v_add_f16_e32 v20, v45, v68
	;; [unrolled: 1-line block ×4, first 2 shown]
	v_fma_f16 v4, v4, -0.5, v45
	v_add_f16_e32 v21, v21, v71
	v_sub_f16_e32 v22, v69, v71
	v_fma_f16 v19, v23, -0.5, v19
	v_add_f16_e32 v20, v20, v70
	v_sub_f16_e32 v23, v68, v70
	v_lshlrev_b32_sdwa v18, v16, v18 dst_sel:DWORD dst_unused:UNUSED_PAD src0_sel:DWORD src1_sel:BYTE_0
	v_add3_u32 v17, 0, v17, v18
	v_pack_b32_f16 v18, v20, v21
	v_fma_f16 v20, v22, s4, v4
	v_fma_f16 v21, v23, s5, v19
	v_pack_b32_f16 v20, v20, v21
	ds_write2_b32 v17, v18, v20 offset1:24
	v_fma_f16 v4, v22, s5, v4
	v_fma_f16 v18, v23, s4, v19
	v_pack_b32_f16 v4, v4, v18
	ds_write_b32 v17, v4 offset:192
	v_lshrrev_b32_e32 v4, 16, v46
	v_add_f16_e32 v19, v72, v74
	v_add_f16_e32 v17, v4, v72
	v_fma_f16 v4, v19, -0.5, v4
	v_add_f16_e32 v19, v46, v73
	v_add_f16_e32 v17, v17, v74
	;; [unrolled: 1-line block ×4, first 2 shown]
	v_sub_f16_e32 v18, v72, v74
	v_sub_f16_e32 v21, v73, v75
	v_mul_u32_u24_e32 v22, 0x120, v24
	v_lshlrev_b32_e32 v23, 2, v25
	v_pack_b32_f16 v17, v19, v17
	v_fma_f16 v19, v20, -0.5, v46
	v_add3_u32 v22, 0, v22, v23
	v_fma_f16 v20, v18, s4, v19
	v_fma_f16 v23, v21, s5, v4
	v_pack_b32_f16 v20, v20, v23
	ds_write2_b32 v22, v17, v20 offset1:24
	v_fma_f16 v17, v18, s5, v19
	v_fma_f16 v4, v21, s4, v4
	v_pack_b32_f16 v4, v17, v4
	v_lshrrev_b32_e32 v17, 16, v47
	ds_write_b32 v22, v4 offset:192
	v_add_f16_e32 v4, v76, v77
	v_add_f16_e32 v18, v47, v76
	;; [unrolled: 1-line block ×4, first 2 shown]
	v_fma_f16 v4, v4, -0.5, v47
	v_add_f16_e32 v19, v19, v51
	v_sub_f16_e32 v20, v50, v51
	v_fma_f16 v17, v21, -0.5, v17
	v_add_f16_e32 v18, v18, v77
	v_sub_f16_e32 v21, v76, v77
	v_mul_u32_u24_e32 v22, 0x120, v38
	v_lshlrev_b32_e32 v23, 2, v39
	v_add3_u32 v22, 0, v22, v23
	v_pack_b32_f16 v18, v18, v19
	v_fma_f16 v19, v20, s4, v4
	v_fma_f16 v23, v21, s5, v17
	;; [unrolled: 1-line block ×4, first 2 shown]
	v_pack_b32_f16 v19, v19, v23
	v_pack_b32_f16 v4, v4, v17
	ds_write2_b32 v22, v18, v19 offset1:24
	ds_write_b32 v22, v4 offset:192
	v_lshrrev_b32_e32 v4, 16, v48
	v_add_f16_e32 v19, v78, v79
	v_add_f16_e32 v17, v4, v78
	v_fma_f16 v4, v19, -0.5, v4
	v_add_f16_e32 v19, v48, v52
	v_add_f16_e32 v17, v17, v79
	;; [unrolled: 1-line block ×4, first 2 shown]
	v_sub_f16_e32 v18, v78, v79
	v_sub_f16_e32 v21, v52, v53
	v_mul_u32_u24_e32 v22, 0x120, v28
	v_lshlrev_b32_e32 v23, 2, v29
	v_pack_b32_f16 v17, v19, v17
	v_fma_f16 v19, v20, -0.5, v48
	v_add3_u32 v22, 0, v22, v23
	v_fma_f16 v20, v18, s4, v19
	v_fma_f16 v23, v21, s5, v4
	v_pack_b32_f16 v20, v20, v23
	ds_write2_b32 v22, v17, v20 offset1:24
	v_fma_f16 v17, v18, s5, v19
	v_fma_f16 v4, v21, s4, v4
	v_pack_b32_f16 v4, v17, v4
	v_lshrrev_b32_e32 v17, 16, v49
	ds_write_b32 v22, v4 offset:192
	v_add_f16_e32 v4, v80, v81
	v_add_f16_e32 v18, v49, v80
	;; [unrolled: 1-line block ×4, first 2 shown]
	v_fma_f16 v4, v4, -0.5, v49
	v_add_f16_e32 v19, v19, v57
	v_sub_f16_e32 v20, v56, v57
	v_fma_f16 v17, v21, -0.5, v17
	v_add_f16_e32 v18, v18, v81
	v_sub_f16_e32 v21, v80, v81
	v_mul_u32_u24_e32 v22, 0x120, v26
	v_lshlrev_b32_e32 v23, 2, v27
	v_add_co_u32_e32 v40, vcc, s8, v40
	v_add3_u32 v22, 0, v22, v23
	v_pack_b32_f16 v18, v18, v19
	v_fma_f16 v19, v20, s4, v4
	v_fma_f16 v23, v21, s5, v17
	;; [unrolled: 1-line block ×4, first 2 shown]
	v_addc_co_u32_e32 v41, vcc, v82, v41, vcc
	v_pack_b32_f16 v4, v4, v17
	ds_write_b32 v22, v4 offset:192
	v_add_u32_e32 v4, -9, v0
	v_cmp_gt_u32_e32 vcc, 9, v0
	v_pack_b32_f16 v19, v19, v23
	v_cndmask_b32_e32 v29, v4, v14, vcc
	ds_write2_b32 v22, v18, v19 offset1:24
	s_waitcnt lgkmcnt(0)
	; wave barrier
	s_waitcnt lgkmcnt(0)
	global_load_dwordx2 v[17:18], v[40:41], off offset:280
	v_lshlrev_b32_e32 v4, 1, v29
	v_lshlrev_b64 v[4:5], 2, v[4:5]
	v_mov_b32_e32 v19, 57
	v_add_co_u32_e32 v4, vcc, s8, v4
	v_addc_co_u32_e32 v5, vcc, v82, v5, vcc
	global_load_dwordx2 v[4:5], v[4:5], off offset:280
	v_mul_lo_u16_sdwa v14, v13, v19 dst_sel:DWORD dst_unused:UNUSED_PAD src0_sel:BYTE_0 src1_sel:DWORD
	v_lshrrev_b16_e32 v38, 12, v14
	v_mul_lo_u16_e32 v14, 0x48, v38
	v_sub_u16_e32 v39, v13, v14
	v_lshlrev_b32_sdwa v13, v15, v39 dst_sel:DWORD dst_unused:UNUSED_PAD src0_sel:DWORD src1_sel:BYTE_0
	global_load_dwordx2 v[13:14], v13, s[8:9] offset:280
	v_mul_lo_u16_sdwa v19, v37, v19 dst_sel:DWORD dst_unused:UNUSED_PAD src0_sel:BYTE_0 src1_sel:DWORD
	v_lshrrev_b16_e32 v40, 12, v19
	v_mul_lo_u16_e32 v19, 0x48, v40
	v_sub_u16_e32 v41, v37, v19
	v_lshlrev_b32_sdwa v15, v15, v41 dst_sel:DWORD dst_unused:UNUSED_PAD src0_sel:DWORD src1_sel:BYTE_0
	global_load_dwordx2 v[19:20], v15, s[8:9] offset:280
	v_mul_u32_u24_sdwa v15, v12, s6 dst_sel:DWORD dst_unused:UNUSED_PAD src0_sel:WORD_0 src1_sel:DWORD
	v_lshrrev_b32_e32 v15, 22, v15
	v_mul_lo_u16_e32 v21, 0x48, v15
	v_sub_u16_e32 v42, v12, v21
	v_lshlrev_b32_e32 v12, 3, v42
	global_load_dwordx2 v[21:22], v12, s[8:9] offset:280
	v_mul_u32_u24_sdwa v12, v11, s6 dst_sel:DWORD dst_unused:UNUSED_PAD src0_sel:WORD_0 src1_sel:DWORD
	v_lshrrev_b32_e32 v43, 22, v12
	v_mul_lo_u16_e32 v12, 0x48, v43
	v_sub_u16_e32 v44, v11, v12
	v_lshlrev_b32_e32 v11, 3, v44
	;; [unrolled: 6-line block ×3, first 2 shown]
	global_load_dwordx2 v[23:24], v10, s[8:9] offset:280
	ds_read2_b32 v[25:26], v8 offset0:120 offset1:183
	v_mul_u32_u24_sdwa v8, v9, s6 dst_sel:DWORD dst_unused:UNUSED_PAD src0_sel:WORD_0 src1_sel:DWORD
	v_lshrrev_b32_e32 v8, 22, v8
	v_mul_lo_u16_e32 v8, 0x48, v8
	v_sub_u16_e32 v47, v9, v8
	v_lshlrev_b32_e32 v8, 3, v47
	global_load_dwordx2 v[8:9], v8, s[8:9] offset:280
	ds_read2_b32 v[27:28], v31 offset0:112 offset1:175
	s_waitcnt lgkmcnt(1)
	v_lshrrev_b32_e32 v10, 16, v25
	v_cmp_lt_u32_e32 vcc, 8, v0
	v_mul_u32_u24_e32 v15, 0x360, v15
	s_waitcnt vmcnt(7)
	v_mul_f16_sdwa v48, v17, v25 dst_sel:DWORD dst_unused:UNUSED_PAD src0_sel:WORD_1 src1_sel:DWORD
	v_fma_f16 v48, v17, v10, -v48
	v_mul_f16_sdwa v10, v17, v10 dst_sel:DWORD dst_unused:UNUSED_PAD src0_sel:WORD_1 src1_sel:DWORD
	v_fma_f16 v25, v17, v25, v10
	s_waitcnt lgkmcnt(0)
	v_lshrrev_b32_e32 v10, 16, v27
	v_mul_f16_sdwa v17, v18, v27 dst_sel:DWORD dst_unused:UNUSED_PAD src0_sel:WORD_1 src1_sel:DWORD
	v_fma_f16 v49, v18, v10, -v17
	v_mul_f16_sdwa v10, v18, v10 dst_sel:DWORD dst_unused:UNUSED_PAD src0_sel:WORD_1 src1_sel:DWORD
	v_fma_f16 v27, v18, v27, v10
	v_lshrrev_b32_e32 v10, 16, v26
	s_waitcnt vmcnt(6)
	v_mul_f16_sdwa v17, v4, v10 dst_sel:DWORD dst_unused:UNUSED_PAD src0_sel:WORD_1 src1_sel:DWORD
	v_fma_f16 v50, v4, v26, v17
	v_mul_f16_sdwa v17, v4, v26 dst_sel:DWORD dst_unused:UNUSED_PAD src0_sel:WORD_1 src1_sel:DWORD
	v_fma_f16 v26, v4, v10, -v17
	v_lshrrev_b32_e32 v4, 16, v28
	ds_read2_b32 v[17:18], v35 offset0:118 offset1:181
	v_mul_f16_sdwa v10, v4, v5 dst_sel:DWORD dst_unused:UNUSED_PAD src0_sel:DWORD src1_sel:WORD_1
	v_fma_f16 v51, v28, v5, v10
	v_mul_f16_sdwa v10, v28, v5 dst_sel:DWORD dst_unused:UNUSED_PAD src0_sel:DWORD src1_sel:WORD_1
	v_fma_f16 v28, v4, v5, -v10
	ds_read2_b32 v[4:5], v33 offset0:110 offset1:173
	s_waitcnt lgkmcnt(1)
	v_lshrrev_b32_e32 v10, 16, v17
	s_waitcnt vmcnt(5)
	v_mul_f16_sdwa v52, v17, v13 dst_sel:DWORD dst_unused:UNUSED_PAD src0_sel:DWORD src1_sel:WORD_1
	v_fma_f16 v52, v10, v13, -v52
	v_mul_f16_sdwa v10, v10, v13 dst_sel:DWORD dst_unused:UNUSED_PAD src0_sel:DWORD src1_sel:WORD_1
	v_fma_f16 v17, v17, v13, v10
	s_waitcnt lgkmcnt(0)
	v_lshrrev_b32_e32 v10, 16, v4
	v_mul_f16_sdwa v13, v4, v14 dst_sel:DWORD dst_unused:UNUSED_PAD src0_sel:DWORD src1_sel:WORD_1
	v_fma_f16 v53, v10, v14, -v13
	v_mul_f16_sdwa v10, v10, v14 dst_sel:DWORD dst_unused:UNUSED_PAD src0_sel:DWORD src1_sel:WORD_1
	v_fma_f16 v54, v4, v14, v10
	v_lshrrev_b32_e32 v4, 16, v18
	s_waitcnt vmcnt(4)
	v_mul_f16_sdwa v10, v4, v19 dst_sel:DWORD dst_unused:UNUSED_PAD src0_sel:DWORD src1_sel:WORD_1
	v_fma_f16 v55, v18, v19, v10
	v_mul_f16_sdwa v10, v18, v19 dst_sel:DWORD dst_unused:UNUSED_PAD src0_sel:DWORD src1_sel:WORD_1
	v_fma_f16 v18, v4, v19, -v10
	v_lshrrev_b32_e32 v4, 16, v5
	ds_read2_b32 v[13:14], v1 offset0:116 offset1:179
	v_mul_f16_sdwa v10, v4, v20 dst_sel:DWORD dst_unused:UNUSED_PAD src0_sel:DWORD src1_sel:WORD_1
	v_fma_f16 v19, v5, v20, v10
	v_mul_f16_sdwa v5, v5, v20 dst_sel:DWORD dst_unused:UNUSED_PAD src0_sel:DWORD src1_sel:WORD_1
	v_fma_f16 v20, v4, v20, -v5
	ds_read2_b32 v[4:5], v7 offset0:108 offset1:171
	s_waitcnt lgkmcnt(1)
	v_lshrrev_b32_e32 v10, 16, v13
	s_waitcnt vmcnt(3)
	v_mul_f16_sdwa v7, v13, v21 dst_sel:DWORD dst_unused:UNUSED_PAD src0_sel:DWORD src1_sel:WORD_1
	v_fma_f16 v56, v10, v21, -v7
	v_mul_f16_sdwa v7, v10, v21 dst_sel:DWORD dst_unused:UNUSED_PAD src0_sel:DWORD src1_sel:WORD_1
	v_fma_f16 v13, v13, v21, v7
	s_waitcnt lgkmcnt(0)
	v_lshrrev_b32_e32 v7, 16, v4
	v_mul_f16_sdwa v10, v4, v22 dst_sel:DWORD dst_unused:UNUSED_PAD src0_sel:DWORD src1_sel:WORD_1
	v_fma_f16 v21, v7, v22, -v10
	v_mul_f16_sdwa v7, v7, v22 dst_sel:DWORD dst_unused:UNUSED_PAD src0_sel:DWORD src1_sel:WORD_1
	v_fma_f16 v22, v4, v22, v7
	v_lshrrev_b32_e32 v4, 16, v14
	s_waitcnt vmcnt(2)
	v_mul_f16_sdwa v7, v4, v11 dst_sel:DWORD dst_unused:UNUSED_PAD src0_sel:DWORD src1_sel:WORD_1
	v_fma_f16 v57, v14, v11, v7
	v_mul_f16_sdwa v7, v14, v11 dst_sel:DWORD dst_unused:UNUSED_PAD src0_sel:DWORD src1_sel:WORD_1
	v_fma_f16 v14, v4, v11, -v7
	v_lshrrev_b32_e32 v4, 16, v5
	ds_read2_b32 v[10:11], v32 offset0:114 offset1:177
	v_mul_f16_sdwa v7, v4, v12 dst_sel:DWORD dst_unused:UNUSED_PAD src0_sel:DWORD src1_sel:WORD_1
	v_fma_f16 v58, v5, v12, v7
	v_mul_f16_sdwa v5, v5, v12 dst_sel:DWORD dst_unused:UNUSED_PAD src0_sel:DWORD src1_sel:WORD_1
	v_fma_f16 v12, v4, v12, -v5
	ds_read2_b32 v[4:5], v36 offset0:106 offset1:169
	s_waitcnt lgkmcnt(1)
	v_lshrrev_b32_e32 v7, 16, v10
	s_waitcnt vmcnt(1)
	v_mul_f16_sdwa v59, v10, v23 dst_sel:DWORD dst_unused:UNUSED_PAD src0_sel:DWORD src1_sel:WORD_1
	v_fma_f16 v59, v7, v23, -v59
	v_mul_f16_sdwa v7, v7, v23 dst_sel:DWORD dst_unused:UNUSED_PAD src0_sel:DWORD src1_sel:WORD_1
	v_fma_f16 v23, v10, v23, v7
	s_waitcnt lgkmcnt(0)
	v_lshrrev_b32_e32 v7, 16, v4
	v_mul_f16_sdwa v10, v4, v24 dst_sel:DWORD dst_unused:UNUSED_PAD src0_sel:DWORD src1_sel:WORD_1
	v_fma_f16 v60, v7, v24, -v10
	v_mul_f16_sdwa v7, v7, v24 dst_sel:DWORD dst_unused:UNUSED_PAD src0_sel:DWORD src1_sel:WORD_1
	v_fma_f16 v24, v4, v24, v7
	v_lshrrev_b32_e32 v4, 16, v11
	s_waitcnt vmcnt(0)
	v_mul_f16_sdwa v7, v4, v8 dst_sel:DWORD dst_unused:UNUSED_PAD src0_sel:DWORD src1_sel:WORD_1
	v_fma_f16 v61, v11, v8, v7
	v_mul_f16_sdwa v7, v11, v8 dst_sel:DWORD dst_unused:UNUSED_PAD src0_sel:DWORD src1_sel:WORD_1
	v_fma_f16 v11, v4, v8, -v7
	ds_read2_b32 v[7:8], v30 offset1:63
	v_lshrrev_b32_e32 v4, 16, v5
	v_mul_f16_sdwa v10, v4, v9 dst_sel:DWORD dst_unused:UNUSED_PAD src0_sel:DWORD src1_sel:WORD_1
	v_fma_f16 v62, v5, v9, v10
	v_mul_f16_sdwa v5, v5, v9 dst_sel:DWORD dst_unused:UNUSED_PAD src0_sel:DWORD src1_sel:WORD_1
	v_fma_f16 v63, v4, v9, -v5
	s_waitcnt lgkmcnt(0)
	v_lshrrev_b32_e32 v4, 16, v7
	v_add_f16_e32 v9, v48, v49
	v_add_f16_e32 v5, v4, v48
	v_sub_f16_e32 v64, v48, v49
	v_fma_f16 v48, v9, -0.5, v4
	v_add_f16_e32 v4, v7, v25
	v_add_f16_e32 v9, v25, v27
	;; [unrolled: 1-line block ×4, first 2 shown]
	v_sub_f16_e32 v25, v25, v27
	v_fma_f16 v49, v9, -0.5, v7
	v_pack_b32_f16 v27, v4, v5
	v_fma_f16 v4, v64, s4, v49
	v_fma_f16 v5, v25, s5, v48
	v_pack_b32_f16 v65, v4, v5
	ds_read2_b32 v[4:5], v6 offset0:124 offset1:187
	ds_read2_b32 v[6:7], v30 offset0:126 offset1:189
	;; [unrolled: 1-line block ×3, first 2 shown]
	s_waitcnt lgkmcnt(0)
	; wave barrier
	s_waitcnt lgkmcnt(0)
	ds_write2_b32 v30, v27, v65 offset1:72
	v_fma_f16 v27, v64, s5, v49
	v_fma_f16 v25, v25, s4, v48
	v_lshrrev_b32_e32 v49, 16, v8
	v_pack_b32_f16 v25, v27, v25
	v_add_f16_e32 v48, v50, v51
	v_add_f16_e32 v64, v49, v26
	v_sub_f16_e32 v65, v26, v28
	v_add_f16_e32 v26, v26, v28
	ds_write_b32 v30, v25 offset:576
	v_mov_b32_e32 v25, 0x360
	v_fma_f16 v48, v48, -0.5, v8
	v_add_f16_e32 v8, v8, v50
	v_add_f16_e32 v64, v64, v28
	v_fma_f16 v26, v26, -0.5, v49
	v_sub_f16_e32 v28, v50, v51
	v_cndmask_b32_e32 v25, 0, v25, vcc
	v_lshlrev_b32_e32 v27, 2, v29
	v_add_f16_e32 v8, v8, v51
	v_add3_u32 v25, 0, v25, v27
	v_fma_f16 v27, v65, s4, v48
	v_fma_f16 v29, v28, s5, v26
	v_pack_b32_f16 v8, v8, v64
	v_pack_b32_f16 v27, v27, v29
	ds_write2_b32 v25, v8, v27 offset1:72
	v_fma_f16 v8, v65, s5, v48
	v_fma_f16 v26, v28, s4, v26
	v_pack_b32_f16 v8, v8, v26
	ds_write_b32 v25, v8 offset:576
	v_lshrrev_b32_e32 v8, 16, v6
	v_add_f16_e32 v27, v52, v53
	v_add_f16_e32 v25, v8, v52
	v_fma_f16 v8, v27, -0.5, v8
	v_add_f16_e32 v27, v6, v17
	v_add_f16_e32 v28, v17, v54
	v_add_f16_e32 v25, v25, v53
	v_sub_f16_e32 v26, v52, v53
	v_add_f16_e32 v27, v27, v54
	v_sub_f16_e32 v17, v17, v54
	v_fma_f16 v6, v28, -0.5, v6
	v_mul_u32_u24_e32 v29, 0x360, v38
	v_lshlrev_b32_sdwa v38, v16, v39 dst_sel:DWORD dst_unused:UNUSED_PAD src0_sel:DWORD src1_sel:BYTE_0
	v_pack_b32_f16 v25, v27, v25
	v_fma_f16 v27, v26, s4, v6
	v_fma_f16 v28, v17, s5, v8
	;; [unrolled: 1-line block ×4, first 2 shown]
	v_add3_u32 v29, 0, v29, v38
	v_pack_b32_f16 v6, v6, v8
	v_pack_b32_f16 v27, v27, v28
	ds_write_b32 v29, v6 offset:576
	v_add_f16_e32 v6, v55, v19
	v_lshrrev_b32_e32 v8, 16, v7
	ds_write2_b32 v29, v25, v27 offset1:72
	v_fma_f16 v6, v6, -0.5, v7
	v_add_f16_e32 v7, v7, v55
	v_add_f16_e32 v17, v8, v18
	v_sub_f16_e32 v25, v18, v20
	v_add_f16_e32 v18, v18, v20
	v_add_f16_e32 v17, v17, v20
	v_fma_f16 v8, v18, -0.5, v8
	v_add_f16_e32 v7, v7, v19
	v_sub_f16_e32 v18, v55, v19
	v_lshlrev_b32_sdwa v16, v16, v41 dst_sel:DWORD dst_unused:UNUSED_PAD src0_sel:DWORD src1_sel:BYTE_0
	v_mul_u32_u24_e32 v19, 0x360, v40
	v_add3_u32 v16, 0, v19, v16
	v_pack_b32_f16 v7, v7, v17
	v_fma_f16 v17, v25, s4, v6
	v_fma_f16 v19, v18, s5, v8
	v_pack_b32_f16 v17, v17, v19
	ds_write2_b32 v16, v7, v17 offset1:72
	v_fma_f16 v6, v25, s5, v6
	v_fma_f16 v7, v18, s4, v8
	v_pack_b32_f16 v6, v6, v7
	ds_write_b32 v16, v6 offset:576
	v_lshrrev_b32_e32 v6, 16, v4
	v_add_f16_e32 v16, v56, v21
	v_add_f16_e32 v7, v6, v56
	v_fma_f16 v6, v16, -0.5, v6
	v_add_f16_e32 v16, v4, v13
	v_add_f16_e32 v17, v13, v22
	;; [unrolled: 1-line block ×3, first 2 shown]
	v_sub_f16_e32 v8, v56, v21
	v_add_f16_e32 v16, v16, v22
	v_sub_f16_e32 v13, v13, v22
	v_fma_f16 v4, v17, -0.5, v4
	v_lshlrev_b32_e32 v18, 2, v42
	v_pack_b32_f16 v7, v16, v7
	v_fma_f16 v16, v8, s4, v4
	v_fma_f16 v17, v13, s5, v6
	;; [unrolled: 1-line block ×4, first 2 shown]
	v_add3_u32 v15, 0, v15, v18
	v_pack_b32_f16 v16, v16, v17
	v_pack_b32_f16 v4, v4, v6
	v_lshrrev_b32_e32 v6, 16, v5
	ds_write2_b32 v15, v7, v16 offset1:72
	ds_write_b32 v15, v4 offset:576
	v_add_f16_e32 v4, v57, v58
	v_add_f16_e32 v7, v6, v14
	v_fma_f16 v4, v4, -0.5, v5
	v_add_f16_e32 v5, v5, v57
	v_add_f16_e32 v7, v7, v12
	v_sub_f16_e32 v8, v14, v12
	v_add_f16_e32 v12, v14, v12
	v_fma_f16 v6, v12, -0.5, v6
	v_add_f16_e32 v5, v5, v58
	v_sub_f16_e32 v12, v57, v58
	v_mul_u32_u24_e32 v13, 0x360, v43
	v_lshlrev_b32_e32 v14, 2, v44
	v_add3_u32 v13, 0, v13, v14
	v_pack_b32_f16 v5, v5, v7
	v_fma_f16 v7, v8, s4, v4
	v_fma_f16 v14, v12, s5, v6
	v_pack_b32_f16 v7, v7, v14
	ds_write2_b32 v13, v5, v7 offset1:72
	v_fma_f16 v4, v8, s5, v4
	v_fma_f16 v5, v12, s4, v6
	v_pack_b32_f16 v4, v4, v5
	ds_write_b32 v13, v4 offset:576
	v_lshrrev_b32_e32 v4, 16, v9
	v_add_f16_e32 v7, v59, v60
	v_add_f16_e32 v5, v4, v59
	v_fma_f16 v4, v7, -0.5, v4
	v_add_f16_e32 v7, v9, v23
	v_add_f16_e32 v5, v5, v60
	;; [unrolled: 1-line block ×4, first 2 shown]
	v_sub_f16_e32 v6, v59, v60
	v_sub_f16_e32 v12, v23, v24
	v_pack_b32_f16 v5, v7, v5
	v_fma_f16 v7, v8, -0.5, v9
	v_mul_u32_u24_e32 v13, 0x360, v45
	v_lshlrev_b32_e32 v14, 2, v46
	v_fma_f16 v8, v6, s4, v7
	v_fma_f16 v9, v12, s5, v4
	v_add3_u32 v13, 0, v13, v14
	v_pack_b32_f16 v8, v8, v9
	ds_write2_b32 v13, v5, v8 offset1:72
	v_fma_f16 v5, v6, s5, v7
	v_fma_f16 v4, v12, s4, v4
	v_pack_b32_f16 v4, v5, v4
	ds_write_b32 v13, v4 offset:576
	v_lshrrev_b32_e32 v4, 16, v10
	v_add_f16_e32 v5, v61, v62
	v_add_f16_e32 v7, v4, v11
	;; [unrolled: 1-line block ×3, first 2 shown]
	v_fma_f16 v6, v5, -0.5, v10
	v_add_f16_e32 v5, v10, v61
	v_add_f16_e32 v38, v7, v63
	v_sub_f16_e32 v7, v11, v63
	v_fma_f16 v8, v8, -0.5, v4
	v_sub_f16_e32 v9, v61, v62
	v_add_f16_e32 v4, v5, v62
	v_fma_f16 v5, v7, s4, v6
	v_fma_f16 v39, v9, s5, v8
	v_lshl_add_u32 v10, v47, 2, 0
	v_fma_f16 v6, v7, s5, v6
	v_fma_f16 v40, v9, s4, v8
	v_pack_b32_f16 v11, v4, v38
	v_pack_b32_f16 v12, v5, v39
	v_add_u32_e32 v13, 0x1400, v10
	v_pack_b32_f16 v7, v6, v40
	ds_write2_b32 v13, v11, v12 offset0:16 offset1:88
	ds_write_b32 v10, v7 offset:5760
	s_waitcnt lgkmcnt(0)
	; wave barrier
	s_waitcnt lgkmcnt(0)
	ds_read_b32 v46, v30 offset:5688
	ds_read2_b32 v[12:13], v30 offset1:63
	ds_read2_b32 v[10:11], v30 offset0:126 offset1:216
	ds_read2_b32 v[28:29], v34 offset0:176 offset1:239
	;; [unrolled: 1-line block ×9, first 2 shown]
	v_cmp_gt_u32_e32 vcc, 27, v0
                                        ; implicit-def: $vgpr41
                                        ; implicit-def: $vgpr44
                                        ; implicit-def: $vgpr45
                                        ; implicit-def: $vgpr42
                                        ; implicit-def: $vgpr43
                                        ; implicit-def: $vgpr8
	s_and_saveexec_b64 s[4:5], vcc
	s_cbranch_execz .LBB0_19
; %bb.18:
	v_add_u32_e32 v4, 0x280, v30
	v_add_u32_e32 v6, 0x980, v30
	ds_read2_b32 v[4:5], v4 offset0:29 offset1:245
	ds_read2_b32 v[6:7], v6 offset0:13 offset1:229
	;; [unrolled: 1-line block ×3, first 2 shown]
	ds_read_b32 v45, v30 offset:5940
	s_waitcnt lgkmcnt(2)
	v_lshrrev_b32_e32 v40, 16, v6
	v_lshrrev_b32_e32 v38, 16, v4
	;; [unrolled: 1-line block ×4, first 2 shown]
	s_waitcnt lgkmcnt(1)
	v_lshrrev_b32_e32 v41, 16, v8
	v_lshrrev_b32_e32 v42, 16, v9
	s_waitcnt lgkmcnt(0)
	v_lshrrev_b32_e32 v44, 16, v45
.LBB0_19:
	s_or_b64 exec, exec, s[4:5]
	v_mul_u32_u24_e32 v47, 6, v0
	v_lshlrev_b32_e32 v69, 2, v47
	global_load_dwordx4 v[47:50], v69, s[8:9] offset:856
	s_waitcnt lgkmcnt(8)
	v_lshrrev_b32_e32 v68, 16, v11
	s_waitcnt lgkmcnt(7)
	v_lshrrev_b32_e32 v67, 16, v28
	;; [unrolled: 2-line block ×7, first 2 shown]
	v_lshrrev_b32_e32 v61, 16, v29
	s_waitcnt lgkmcnt(1)
	v_lshrrev_b32_e32 v51, 16, v20
	v_lshrrev_b32_e32 v52, 16, v27
	s_waitcnt lgkmcnt(0)
	v_lshrrev_b32_e32 v53, 16, v14
	v_lshrrev_b32_e32 v54, 16, v25
	;; [unrolled: 1-line block ×8, first 2 shown]
	s_movk_i32 s10, 0x2b26
	s_mov_b32 s6, 0xbb00
	s_mov_b32 s11, 0xbcab
	s_movk_i32 s7, 0x39e0
	s_mov_b32 s14, 0xb9e0
	s_mov_b32 s15, 0xb574
	s_movk_i32 s12, 0x3574
	s_mov_b32 s13, 0xb70e
	s_waitcnt vmcnt(0)
	v_mul_f16_sdwa v70, v47, v68 dst_sel:DWORD dst_unused:UNUSED_PAD src0_sel:WORD_1 src1_sel:DWORD
	v_fma_f16 v70, v47, v11, v70
	v_mul_f16_sdwa v11, v47, v11 dst_sel:DWORD dst_unused:UNUSED_PAD src0_sel:WORD_1 src1_sel:DWORD
	v_fma_f16 v11, v47, v68, -v11
	v_mul_f16_sdwa v47, v48, v67 dst_sel:DWORD dst_unused:UNUSED_PAD src0_sel:WORD_1 src1_sel:DWORD
	v_fma_f16 v68, v48, v28, v47
	v_mul_f16_sdwa v28, v48, v28 dst_sel:DWORD dst_unused:UNUSED_PAD src0_sel:WORD_1 src1_sel:DWORD
	v_mul_f16_sdwa v47, v49, v66 dst_sel:DWORD dst_unused:UNUSED_PAD src0_sel:WORD_1 src1_sel:DWORD
	v_fma_f16 v28, v48, v67, -v28
	v_fma_f16 v67, v49, v19, v47
	global_load_dwordx2 v[47:48], v69, s[8:9] offset:872
	v_mul_f16_sdwa v19, v49, v19 dst_sel:DWORD dst_unused:UNUSED_PAD src0_sel:WORD_1 src1_sel:DWORD
	v_fma_f16 v66, v49, v66, -v19
	v_mul_f16_sdwa v19, v50, v65 dst_sel:DWORD dst_unused:UNUSED_PAD src0_sel:WORD_1 src1_sel:DWORD
	v_fma_f16 v71, v50, v26, v19
	v_mul_f16_sdwa v19, v50, v26 dst_sel:DWORD dst_unused:UNUSED_PAD src0_sel:WORD_1 src1_sel:DWORD
	v_fma_f16 v65, v50, v65, -v19
	s_waitcnt vmcnt(0)
	v_mul_f16_sdwa v19, v47, v64 dst_sel:DWORD dst_unused:UNUSED_PAD src0_sel:WORD_1 src1_sel:DWORD
	v_fma_f16 v72, v47, v17, v19
	v_mul_f16_sdwa v17, v47, v17 dst_sel:DWORD dst_unused:UNUSED_PAD src0_sel:WORD_1 src1_sel:DWORD
	v_fma_f16 v64, v47, v64, -v17
	v_mul_f16_sdwa v17, v48, v63 dst_sel:DWORD dst_unused:UNUSED_PAD src0_sel:WORD_1 src1_sel:DWORD
	v_fma_f16 v73, v48, v24, v17
	v_mul_f16_sdwa v17, v48, v24 dst_sel:DWORD dst_unused:UNUSED_PAD src0_sel:WORD_1 src1_sel:DWORD
	v_fma_f16 v63, v48, v63, -v17
	global_load_dwordx4 v[47:50], v69, s[8:9] offset:2368
	s_waitcnt vmcnt(0)
	v_mul_f16_sdwa v17, v47, v62 dst_sel:DWORD dst_unused:UNUSED_PAD src0_sel:WORD_1 src1_sel:DWORD
	v_fma_f16 v74, v47, v22, v17
	v_mul_f16_sdwa v17, v47, v22 dst_sel:DWORD dst_unused:UNUSED_PAD src0_sel:WORD_1 src1_sel:DWORD
	v_fma_f16 v22, v47, v62, -v17
	v_mul_f16_sdwa v17, v48, v61 dst_sel:DWORD dst_unused:UNUSED_PAD src0_sel:WORD_1 src1_sel:DWORD
	v_fma_f16 v47, v48, v29, v17
	v_mul_f16_sdwa v17, v48, v29 dst_sel:DWORD dst_unused:UNUSED_PAD src0_sel:WORD_1 src1_sel:DWORD
	v_fma_f16 v29, v48, v61, -v17
	v_mul_f16_sdwa v17, v51, v49 dst_sel:DWORD dst_unused:UNUSED_PAD src0_sel:DWORD src1_sel:WORD_1
	v_fma_f16 v48, v20, v49, v17
	v_mul_f16_sdwa v17, v20, v49 dst_sel:DWORD dst_unused:UNUSED_PAD src0_sel:DWORD src1_sel:WORD_1
	global_load_dwordx2 v[19:20], v69, s[8:9] offset:2384
	v_fma_f16 v49, v51, v49, -v17
	v_mul_f16_sdwa v17, v52, v50 dst_sel:DWORD dst_unused:UNUSED_PAD src0_sel:DWORD src1_sel:WORD_1
	v_fma_f16 v51, v27, v50, v17
	v_mul_f16_sdwa v17, v27, v50 dst_sel:DWORD dst_unused:UNUSED_PAD src0_sel:DWORD src1_sel:WORD_1
	v_fma_f16 v50, v52, v50, -v17
	v_add_f16_e32 v61, v66, v65
	v_sub_f16_e32 v62, v71, v67
	s_waitcnt vmcnt(0)
	v_mul_f16_sdwa v17, v53, v19 dst_sel:DWORD dst_unused:UNUSED_PAD src0_sel:DWORD src1_sel:WORD_1
	v_fma_f16 v52, v14, v19, v17
	v_mul_f16_sdwa v14, v14, v19 dst_sel:DWORD dst_unused:UNUSED_PAD src0_sel:DWORD src1_sel:WORD_1
	v_mul_f16_sdwa v17, v54, v20 dst_sel:DWORD dst_unused:UNUSED_PAD src0_sel:DWORD src1_sel:WORD_1
	v_fma_f16 v14, v53, v19, -v14
	v_fma_f16 v19, v25, v20, v17
	v_mul_f16_sdwa v17, v25, v20 dst_sel:DWORD dst_unused:UNUSED_PAD src0_sel:DWORD src1_sel:WORD_1
	global_load_dwordx4 v[24:27], v69, s[8:9] offset:3880
	v_fma_f16 v20, v54, v20, -v17
	s_waitcnt vmcnt(0)
	v_mul_f16_sdwa v17, v55, v24 dst_sel:DWORD dst_unused:UNUSED_PAD src0_sel:DWORD src1_sel:WORD_1
	v_fma_f16 v53, v23, v24, v17
	v_mul_f16_sdwa v17, v23, v24 dst_sel:DWORD dst_unused:UNUSED_PAD src0_sel:DWORD src1_sel:WORD_1
	v_fma_f16 v23, v55, v24, -v17
	v_mul_f16_sdwa v17, v56, v25 dst_sel:DWORD dst_unused:UNUSED_PAD src0_sel:DWORD src1_sel:WORD_1
	v_fma_f16 v24, v18, v25, v17
	v_mul_f16_sdwa v17, v18, v25 dst_sel:DWORD dst_unused:UNUSED_PAD src0_sel:DWORD src1_sel:WORD_1
	v_fma_f16 v18, v56, v25, -v17
	;; [unrolled: 4-line block ×4, first 2 shown]
	global_load_dwordx2 v[16:17], v69, s[8:9] offset:3896
	v_add_f16_e32 v55, v11, v63
	v_add_f16_e32 v57, v68, v72
	;; [unrolled: 1-line block ×3, first 2 shown]
	v_sub_f16_e32 v56, v70, v73
	v_sub_f16_e32 v11, v11, v63
	;; [unrolled: 1-line block ×4, first 2 shown]
	v_add_f16_e32 v65, v58, v55
	v_add_f16_e32 v69, v63, v28
	s_waitcnt lgkmcnt(0)
	; wave barrier
	s_waitcnt vmcnt(0)
	v_mul_f16_sdwa v54, v59, v16 dst_sel:DWORD dst_unused:UNUSED_PAD src0_sel:DWORD src1_sel:WORD_1
	v_fma_f16 v54, v15, v16, v54
	v_mul_f16_sdwa v15, v15, v16 dst_sel:DWORD dst_unused:UNUSED_PAD src0_sel:DWORD src1_sel:WORD_1
	v_fma_f16 v15, v59, v16, -v15
	v_mul_f16_sdwa v16, v60, v17 dst_sel:DWORD dst_unused:UNUSED_PAD src0_sel:DWORD src1_sel:WORD_1
	v_fma_f16 v16, v46, v17, v16
	v_mul_f16_sdwa v46, v46, v17 dst_sel:DWORD dst_unused:UNUSED_PAD src0_sel:DWORD src1_sel:WORD_1
	v_fma_f16 v17, v60, v17, -v46
	v_add_f16_e32 v46, v70, v73
	v_sub_f16_e32 v59, v68, v72
	v_add_f16_e32 v60, v67, v71
	v_add_f16_e32 v64, v57, v46
	v_sub_f16_e32 v66, v57, v46
	v_sub_f16_e32 v67, v58, v55
	v_sub_f16_e32 v46, v46, v60
	v_sub_f16_e32 v55, v55, v61
	v_sub_f16_e32 v57, v60, v57
	v_sub_f16_e32 v58, v61, v58
	v_add_f16_e32 v68, v62, v59
	v_sub_f16_e32 v70, v62, v59
	v_sub_f16_e32 v71, v63, v28
	;; [unrolled: 1-line block ×4, first 2 shown]
	v_add_f16_e32 v60, v60, v64
	v_add_f16_e32 v61, v61, v65
	v_sub_f16_e32 v62, v56, v62
	v_sub_f16_e32 v63, v11, v63
	v_add_f16_e32 v56, v68, v56
	v_add_f16_e32 v11, v69, v11
	;; [unrolled: 1-line block ×3, first 2 shown]
	v_add_f16_sdwa v12, v12, v61 dst_sel:DWORD dst_unused:UNUSED_PAD src0_sel:WORD_1 src1_sel:DWORD
	v_mul_f16_e32 v46, 0x3a52, v46
	v_mul_f16_e32 v55, 0x3a52, v55
	;; [unrolled: 1-line block ×8, first 2 shown]
	v_fma_f16 v60, v60, s11, v64
	v_fma_f16 v61, v61, s11, v12
	;; [unrolled: 1-line block ×4, first 2 shown]
	v_fma_f16 v65, v66, s7, -v65
	v_fma_f16 v68, v67, s7, -v68
	;; [unrolled: 1-line block ×4, first 2 shown]
	v_fma_f16 v66, v62, s15, v69
	v_fma_f16 v67, v63, s15, v70
	v_fma_f16 v59, v59, s6, -v69
	v_fma_f16 v28, v28, s6, -v70
	;; [unrolled: 1-line block ×4, first 2 shown]
	v_add_f16_e32 v57, v57, v60
	v_add_f16_e32 v58, v58, v61
	;; [unrolled: 1-line block ×6, first 2 shown]
	v_fma_f16 v60, v56, s13, v66
	v_fma_f16 v61, v11, s13, v67
	;; [unrolled: 1-line block ×6, first 2 shown]
	v_add_f16_e32 v62, v61, v57
	v_sub_f16_e32 v63, v58, v60
	v_add_f16_e32 v66, v11, v46
	v_sub_f16_e32 v67, v55, v56
	v_sub_f16_e32 v11, v46, v11
	v_add_f16_e32 v46, v56, v55
	v_sub_f16_e32 v55, v57, v61
	v_add_f16_e32 v56, v60, v58
	v_add_f16_e32 v57, v74, v19
	v_add_f16_e32 v58, v22, v20
	v_sub_f16_e32 v20, v22, v20
	v_add_f16_e32 v22, v47, v52
	v_add_f16_e32 v60, v29, v14
	v_sub_f16_e32 v19, v74, v19
	v_sub_f16_e32 v47, v47, v52
	;; [unrolled: 1-line block ×3, first 2 shown]
	v_add_f16_e32 v29, v48, v51
	v_add_f16_e32 v52, v49, v50
	v_sub_f16_e32 v48, v51, v48
	v_sub_f16_e32 v49, v50, v49
	v_add_f16_e32 v50, v22, v57
	v_add_f16_e32 v51, v60, v58
	v_sub_f16_e32 v69, v65, v28
	v_add_f16_e32 v70, v59, v68
	v_add_f16_e32 v28, v28, v65
	v_sub_f16_e32 v59, v68, v59
	v_sub_f16_e32 v61, v22, v57
	v_sub_f16_e32 v65, v60, v58
	v_sub_f16_e32 v57, v57, v29
	v_sub_f16_e32 v58, v58, v52
	v_sub_f16_e32 v22, v29, v22
	v_sub_f16_e32 v60, v52, v60
	v_add_f16_e32 v68, v48, v47
	v_add_f16_e32 v71, v49, v14
	v_sub_f16_e32 v72, v48, v47
	v_sub_f16_e32 v73, v49, v14
	;; [unrolled: 1-line block ×4, first 2 shown]
	v_add_f16_e32 v29, v29, v50
	v_add_f16_e32 v50, v52, v51
	v_sub_f16_e32 v48, v19, v48
	v_sub_f16_e32 v49, v20, v49
	v_add_f16_e32 v19, v68, v19
	v_add_f16_e32 v20, v71, v20
	;; [unrolled: 1-line block ×3, first 2 shown]
	v_add_f16_sdwa v13, v13, v50 dst_sel:DWORD dst_unused:UNUSED_PAD src0_sel:WORD_1 src1_sel:DWORD
	v_mul_f16_e32 v52, 0x3a52, v57
	v_mul_f16_e32 v57, 0x3a52, v58
	v_mul_f16_e32 v58, 0x2b26, v22
	v_mul_f16_e32 v68, 0x2b26, v60
	v_mul_f16_e32 v71, 0x3846, v72
	v_mul_f16_e32 v72, 0x3846, v73
	v_mul_f16_e32 v73, 0xbb00, v47
	v_mul_f16_e32 v74, 0xbb00, v14
	v_fma_f16 v29, v29, s11, v51
	v_fma_f16 v50, v50, s11, v13
	;; [unrolled: 1-line block ×4, first 2 shown]
	v_fma_f16 v58, v61, s7, -v58
	v_fma_f16 v68, v65, s7, -v68
	;; [unrolled: 1-line block ×4, first 2 shown]
	v_fma_f16 v61, v48, s15, v71
	v_fma_f16 v65, v49, s15, v72
	v_fma_f16 v47, v47, s6, -v71
	v_fma_f16 v14, v14, s6, -v72
	;; [unrolled: 1-line block ×4, first 2 shown]
	v_add_f16_e32 v22, v22, v29
	v_add_f16_e32 v60, v60, v50
	;; [unrolled: 1-line block ×6, first 2 shown]
	v_fma_f16 v52, v19, s13, v61
	v_fma_f16 v57, v20, s13, v65
	;; [unrolled: 1-line block ×6, first 2 shown]
	v_sub_f16_e32 v49, v60, v52
	v_add_f16_e32 v61, v20, v29
	v_sub_f16_e32 v65, v50, v19
	v_sub_f16_e32 v20, v29, v20
	v_add_f16_e32 v19, v19, v50
	v_add_f16_e32 v29, v52, v60
	;; [unrolled: 1-line block ×4, first 2 shown]
	v_sub_f16_e32 v16, v53, v16
	v_sub_f16_e32 v17, v23, v17
	v_add_f16_e32 v23, v24, v54
	v_add_f16_e32 v53, v18, v15
	v_sub_f16_e32 v24, v24, v54
	v_sub_f16_e32 v15, v18, v15
	v_add_f16_e32 v18, v25, v26
	v_add_f16_e32 v54, v21, v27
	v_sub_f16_e32 v25, v26, v25
	v_sub_f16_e32 v21, v27, v21
	v_add_f16_e32 v26, v23, v50
	v_add_f16_e32 v27, v53, v52
	v_add_f16_e32 v48, v57, v22
	v_sub_f16_e32 v71, v58, v14
	v_add_f16_e32 v72, v47, v68
	v_add_f16_e32 v14, v14, v58
	v_sub_f16_e32 v47, v68, v47
	v_sub_f16_e32 v22, v22, v57
	;; [unrolled: 1-line block ×8, first 2 shown]
	v_add_f16_e32 v60, v25, v24
	v_add_f16_e32 v68, v21, v15
	v_sub_f16_e32 v73, v25, v24
	v_sub_f16_e32 v74, v21, v15
	;; [unrolled: 1-line block ×3, first 2 shown]
	v_add_f16_e32 v18, v18, v26
	v_add_f16_e32 v26, v54, v27
	v_sub_f16_e32 v25, v16, v25
	v_sub_f16_e32 v21, v17, v21
	;; [unrolled: 1-line block ×3, first 2 shown]
	v_add_f16_e32 v16, v60, v16
	v_add_f16_e32 v17, v68, v17
	;; [unrolled: 1-line block ×3, first 2 shown]
	v_add_f16_sdwa v10, v10, v26 dst_sel:DWORD dst_unused:UNUSED_PAD src0_sel:WORD_1 src1_sel:DWORD
	v_mul_f16_e32 v50, 0x3a52, v50
	v_mul_f16_e32 v52, 0x3a52, v52
	;; [unrolled: 1-line block ×8, first 2 shown]
	v_fma_f16 v18, v18, s11, v27
	v_fma_f16 v26, v26, s11, v10
	;; [unrolled: 1-line block ×4, first 2 shown]
	v_fma_f16 v54, v57, s7, -v54
	v_fma_f16 v60, v58, s7, -v60
	;; [unrolled: 1-line block ×4, first 2 shown]
	v_fma_f16 v57, v25, s15, v68
	v_fma_f16 v58, v21, s15, v73
	v_fma_f16 v24, v24, s6, -v68
	v_fma_f16 v25, v25, s12, -v74
	;; [unrolled: 1-line block ×4, first 2 shown]
	v_add_f16_e32 v23, v23, v18
	v_add_f16_e32 v53, v53, v26
	v_add_f16_e32 v54, v54, v18
	v_add_f16_e32 v60, v60, v26
	v_add_f16_e32 v18, v50, v18
	v_add_f16_e32 v26, v52, v26
	v_fma_f16 v50, v16, s13, v57
	v_fma_f16 v52, v17, s13, v58
	;; [unrolled: 1-line block ×6, first 2 shown]
	v_add_f16_e32 v21, v52, v23
	v_sub_f16_e32 v25, v53, v50
	v_sub_f16_e32 v58, v26, v16
	v_add_f16_e32 v16, v16, v26
	v_pack_b32_f16 v12, v64, v12
	v_pack_b32_f16 v26, v62, v63
	;; [unrolled: 1-line block ×4, first 2 shown]
	v_add_f16_e32 v57, v17, v18
	ds_write2_b32 v30, v12, v13 offset1:63
	v_pack_b32_f16 v12, v48, v49
	ds_write2_b32 v30, v10, v26 offset0:126 offset1:216
	v_pack_b32_f16 v10, v21, v25
	v_sub_f16_e32 v68, v54, v15
	v_add_f16_e32 v73, v24, v60
	v_sub_f16_e32 v17, v18, v17
	v_sub_f16_e32 v18, v23, v52
	v_add_f16_e32 v23, v50, v53
	v_pack_b32_f16 v50, v66, v67
	v_pack_b32_f16 v52, v69, v70
	;; [unrolled: 1-line block ×3, first 2 shown]
	ds_write2_b32 v34, v12, v10 offset0:23 offset1:86
	v_pack_b32_f16 v10, v57, v58
	v_add_f16_e32 v15, v15, v54
	v_sub_f16_e32 v24, v60, v24
	ds_write2_b32 v34, v50, v13 offset0:176 offset1:239
	v_pack_b32_f16 v13, v71, v72
	ds_write2_b32 v35, v10, v52 offset0:46 offset1:136
	v_pack_b32_f16 v10, v68, v73
	v_pack_b32_f16 v28, v28, v59
	;; [unrolled: 1-line block ×4, first 2 shown]
	ds_write2_b32 v1, v13, v10 offset0:71 offset1:134
	v_pack_b32_f16 v1, v15, v24
	ds_write2_b32 v32, v28, v14 offset0:96 offset1:159
	v_pack_b32_f16 v14, v20, v19
	;; [unrolled: 2-line block ×3, first 2 shown]
	v_pack_b32_f16 v46, v55, v56
	v_pack_b32_f16 v19, v22, v29
	ds_write2_b32 v33, v14, v1 offset0:119 offset1:182
	v_pack_b32_f16 v1, v18, v23
	ds_write2_b32 v36, v46, v19 offset0:16 offset1:79
	ds_write_b32 v30, v1 offset:5688
	s_and_saveexec_b64 s[4:5], vcc
	s_cbranch_execz .LBB0_21
; %bb.20:
	v_subrev_u32_e32 v1, 27, v0
	v_cndmask_b32_e32 v1, v1, v37, vcc
	v_mul_i32_i24_e32 v10, 6, v1
	v_mov_b32_e32 v11, 0
	v_lshlrev_b64 v[10:11], 2, v[10:11]
	v_mov_b32_e32 v1, s9
	v_add_co_u32_e32 v14, vcc, s8, v10
	v_addc_co_u32_e32 v15, vcc, v1, v11, vcc
	global_load_dwordx4 v[10:13], v[14:15], off offset:856
	global_load_dwordx2 v[16:17], v[14:15], off offset:872
	s_waitcnt vmcnt(1)
	v_mul_f16_sdwa v1, v39, v10 dst_sel:DWORD dst_unused:UNUSED_PAD src0_sel:DWORD src1_sel:WORD_1
	s_waitcnt vmcnt(0)
	v_mul_f16_sdwa v14, v44, v17 dst_sel:DWORD dst_unused:UNUSED_PAD src0_sel:DWORD src1_sel:WORD_1
	v_mul_f16_sdwa v15, v41, v13 dst_sel:DWORD dst_unused:UNUSED_PAD src0_sel:DWORD src1_sel:WORD_1
	;; [unrolled: 1-line block ×11, first 2 shown]
	v_fma_f16 v1, v5, v10, v1
	v_fma_f16 v5, v45, v17, v14
	;; [unrolled: 1-line block ×6, first 2 shown]
	v_fma_f16 v14, v44, v17, -v21
	v_fma_f16 v10, v39, v10, -v22
	;; [unrolled: 1-line block ×6, first 2 shown]
	v_sub_f16_e32 v16, v1, v5
	v_sub_f16_e32 v17, v8, v7
	;; [unrolled: 1-line block ×3, first 2 shown]
	v_add_f16_e32 v19, v10, v14
	v_add_f16_e32 v21, v11, v15
	;; [unrolled: 1-line block ×5, first 2 shown]
	v_sub_f16_e32 v7, v10, v14
	v_sub_f16_e32 v8, v13, v12
	;; [unrolled: 1-line block ×3, first 2 shown]
	v_add_f16_e32 v20, v12, v13
	v_add_f16_e32 v15, v21, v19
	;; [unrolled: 1-line block ×3, first 2 shown]
	v_sub_f16_e32 v24, v7, v8
	v_sub_f16_e32 v25, v8, v9
	v_add_f16_e32 v8, v8, v9
	v_sub_f16_e32 v10, v16, v17
	v_sub_f16_e32 v11, v17, v18
	v_add_f16_e32 v12, v17, v18
	v_sub_f16_e32 v13, v19, v20
	v_sub_f16_e32 v17, v1, v5
	;; [unrolled: 1-line block ×4, first 2 shown]
	v_add_f16_e32 v15, v20, v15
	v_add_f16_e32 v5, v5, v23
	;; [unrolled: 1-line block ×3, first 2 shown]
	v_sub_f16_e32 v7, v9, v7
	v_sub_f16_e32 v14, v20, v21
	;; [unrolled: 1-line block ×4, first 2 shown]
	v_mul_f16_e32 v6, 0x3846, v11
	v_add_f16_e32 v11, v12, v16
	v_mul_f16_e32 v12, 0x3a52, v13
	v_mul_f16_e32 v16, 0x3a52, v17
	;; [unrolled: 1-line block ×5, first 2 shown]
	v_add_f16_e32 v25, v38, v15
	v_add_f16_e32 v4, v4, v5
	v_mul_f16_e32 v9, 0xbb00, v7
	v_mul_f16_e32 v13, 0x2b26, v14
	v_fma_f16 v23, v10, s15, v6
	v_fma_f16 v14, v14, s10, v12
	;; [unrolled: 1-line block ×4, first 2 shown]
	v_fma_f16 v10, v10, s12, -v21
	v_fma_f16 v12, v19, s14, -v12
	;; [unrolled: 1-line block ×3, first 2 shown]
	v_fma_f16 v15, v15, s11, v25
	v_fma_f16 v5, v5, s11, v4
	v_fma_f16 v9, v24, s12, -v9
	v_fma_f16 v7, v7, s6, -v20
	;; [unrolled: 1-line block ×3, first 2 shown]
	v_fma_f16 v21, v11, s13, v23
	v_fma_f16 v23, v8, s13, v26
	;; [unrolled: 1-line block ×3, first 2 shown]
	v_add_f16_e32 v14, v14, v15
	v_add_f16_e32 v22, v22, v5
	v_add_f16_e32 v12, v12, v15
	v_add_f16_e32 v16, v16, v5
	v_fma_f16 v9, v8, s13, v9
	v_fma_f16 v13, v19, s7, -v13
	v_fma_f16 v6, v18, s6, -v6
	v_fma_f16 v7, v8, s13, v7
	v_add_f16_e32 v1, v1, v5
	v_add_f16_e32 v28, v10, v12
	v_sub_f16_e32 v24, v16, v9
	v_add_f16_e32 v13, v13, v15
	v_fma_f16 v6, v11, s13, v6
	v_add_f16_e32 v5, v7, v1
	v_sub_f16_e32 v1, v1, v7
	v_sub_f16_e32 v7, v12, v10
	v_add_f16_e32 v8, v9, v16
	v_sub_f16_e32 v9, v14, v21
	v_add_f16_e32 v10, v23, v22
	;; [unrolled: 2-line block ×3, first 2 shown]
	v_pack_b32_f16 v4, v4, v25
	v_pack_b32_f16 v9, v10, v9
	v_add_u32_e32 v10, 0x280, v30
	ds_write2_b32 v10, v4, v9 offset0:29 offset1:245
	v_pack_b32_f16 v4, v8, v7
	v_pack_b32_f16 v1, v1, v6
	v_add_u32_e32 v6, 0x980, v30
	v_add_f16_e32 v26, v21, v14
	v_sub_f16_e32 v27, v22, v23
	ds_write2_b32 v6, v4, v1 offset0:13 offset1:229
	v_pack_b32_f16 v1, v5, v11
	v_pack_b32_f16 v4, v24, v28
	v_add_u32_e32 v5, 0x1000, v30
	ds_write2_b32 v5, v1, v4 offset0:29 offset1:245
	v_pack_b32_f16 v1, v27, v26
	ds_write_b32 v30, v1 offset:5940
.LBB0_21:
	s_or_b64 exec, exec, s[4:5]
	s_waitcnt lgkmcnt(0)
	; wave barrier
	s_waitcnt lgkmcnt(0)
	s_and_saveexec_b64 s[4:5], s[0:1]
	s_cbranch_execz .LBB0_23
; %bb.22:
	v_lshl_add_u32 v6, v0, 2, 0
	v_mov_b32_e32 v1, 0
	ds_read2_b32 v[4:5], v6 offset1:63
	v_mov_b32_e32 v7, s3
	v_add_co_u32_e32 v8, vcc, s2, v2
	v_addc_co_u32_e32 v7, vcc, v7, v3, vcc
	v_lshlrev_b64 v[2:3], 2, v[0:1]
	v_add_co_u32_e32 v2, vcc, v8, v2
	v_addc_co_u32_e32 v3, vcc, v7, v3, vcc
	s_waitcnt lgkmcnt(0)
	global_store_dword v[2:3], v4, off
	v_add_u32_e32 v2, 63, v0
	v_mov_b32_e32 v3, v1
	v_lshlrev_b64 v[2:3], 2, v[2:3]
	v_add_co_u32_e32 v2, vcc, v8, v2
	v_addc_co_u32_e32 v3, vcc, v7, v3, vcc
	global_store_dword v[2:3], v5, off
	v_add_u32_e32 v2, 0x7e, v0
	v_mov_b32_e32 v3, v1
	ds_read2_b32 v[4:5], v6 offset0:126 offset1:189
	v_lshlrev_b64 v[2:3], 2, v[2:3]
	v_add_co_u32_e32 v2, vcc, v8, v2
	v_addc_co_u32_e32 v3, vcc, v7, v3, vcc
	s_waitcnt lgkmcnt(0)
	global_store_dword v[2:3], v4, off
	v_add_u32_e32 v2, 0xbd, v0
	v_mov_b32_e32 v3, v1
	v_lshlrev_b64 v[2:3], 2, v[2:3]
	v_add_u32_e32 v4, 0x200, v6
	v_add_co_u32_e32 v2, vcc, v8, v2
	v_addc_co_u32_e32 v3, vcc, v7, v3, vcc
	global_store_dword v[2:3], v5, off
	v_add_u32_e32 v2, 0xfc, v0
	v_mov_b32_e32 v3, v1
	ds_read2_b32 v[4:5], v4 offset0:124 offset1:187
	v_lshlrev_b64 v[2:3], 2, v[2:3]
	v_add_co_u32_e32 v2, vcc, v8, v2
	v_addc_co_u32_e32 v3, vcc, v7, v3, vcc
	s_waitcnt lgkmcnt(0)
	global_store_dword v[2:3], v4, off
	v_add_u32_e32 v2, 0x13b, v0
	v_mov_b32_e32 v3, v1
	v_lshlrev_b64 v[2:3], 2, v[2:3]
	v_add_u32_e32 v4, 0x400, v6
	;; [unrolled: 15-line block ×10, first 2 shown]
	v_add_co_u32_e32 v2, vcc, v8, v2
	v_addc_co_u32_e32 v3, vcc, v7, v3, vcc
	global_store_dword v[2:3], v5, off
	v_add_u32_e32 v2, 0x56a, v0
	v_mov_b32_e32 v3, v1
	v_lshlrev_b64 v[2:3], 2, v[2:3]
	ds_read2_b32 v[4:5], v4 offset0:106 offset1:169
	v_add_u32_e32 v0, 0x5a9, v0
	v_add_co_u32_e32 v2, vcc, v8, v2
	v_lshlrev_b64 v[0:1], 2, v[0:1]
	v_addc_co_u32_e32 v3, vcc, v7, v3, vcc
	v_add_co_u32_e32 v0, vcc, v8, v0
	v_addc_co_u32_e32 v1, vcc, v7, v1, vcc
	s_waitcnt lgkmcnt(0)
	global_store_dword v[2:3], v4, off
	global_store_dword v[0:1], v5, off
.LBB0_23:
	s_endpgm
	.section	.rodata,"a",@progbits
	.p2align	6, 0x0
	.amdhsa_kernel fft_rtc_back_len1512_factors_2_2_2_3_3_3_7_wgs_63_tpt_63_halfLds_half_ip_CI_unitstride_sbrr_C2R_dirReg
		.amdhsa_group_segment_fixed_size 0
		.amdhsa_private_segment_fixed_size 0
		.amdhsa_kernarg_size 88
		.amdhsa_user_sgpr_count 6
		.amdhsa_user_sgpr_private_segment_buffer 1
		.amdhsa_user_sgpr_dispatch_ptr 0
		.amdhsa_user_sgpr_queue_ptr 0
		.amdhsa_user_sgpr_kernarg_segment_ptr 1
		.amdhsa_user_sgpr_dispatch_id 0
		.amdhsa_user_sgpr_flat_scratch_init 0
		.amdhsa_user_sgpr_private_segment_size 0
		.amdhsa_uses_dynamic_stack 0
		.amdhsa_system_sgpr_private_segment_wavefront_offset 0
		.amdhsa_system_sgpr_workgroup_id_x 1
		.amdhsa_system_sgpr_workgroup_id_y 0
		.amdhsa_system_sgpr_workgroup_id_z 0
		.amdhsa_system_sgpr_workgroup_info 0
		.amdhsa_system_vgpr_workitem_id 0
		.amdhsa_next_free_vgpr 84
		.amdhsa_next_free_sgpr 22
		.amdhsa_reserve_vcc 1
		.amdhsa_reserve_flat_scratch 0
		.amdhsa_float_round_mode_32 0
		.amdhsa_float_round_mode_16_64 0
		.amdhsa_float_denorm_mode_32 3
		.amdhsa_float_denorm_mode_16_64 3
		.amdhsa_dx10_clamp 1
		.amdhsa_ieee_mode 1
		.amdhsa_fp16_overflow 0
		.amdhsa_exception_fp_ieee_invalid_op 0
		.amdhsa_exception_fp_denorm_src 0
		.amdhsa_exception_fp_ieee_div_zero 0
		.amdhsa_exception_fp_ieee_overflow 0
		.amdhsa_exception_fp_ieee_underflow 0
		.amdhsa_exception_fp_ieee_inexact 0
		.amdhsa_exception_int_div_zero 0
	.end_amdhsa_kernel
	.text
.Lfunc_end0:
	.size	fft_rtc_back_len1512_factors_2_2_2_3_3_3_7_wgs_63_tpt_63_halfLds_half_ip_CI_unitstride_sbrr_C2R_dirReg, .Lfunc_end0-fft_rtc_back_len1512_factors_2_2_2_3_3_3_7_wgs_63_tpt_63_halfLds_half_ip_CI_unitstride_sbrr_C2R_dirReg
                                        ; -- End function
	.section	.AMDGPU.csdata,"",@progbits
; Kernel info:
; codeLenInByte = 17876
; NumSgprs: 26
; NumVgprs: 84
; ScratchSize: 0
; MemoryBound: 0
; FloatMode: 240
; IeeeMode: 1
; LDSByteSize: 0 bytes/workgroup (compile time only)
; SGPRBlocks: 3
; VGPRBlocks: 20
; NumSGPRsForWavesPerEU: 26
; NumVGPRsForWavesPerEU: 84
; Occupancy: 3
; WaveLimiterHint : 1
; COMPUTE_PGM_RSRC2:SCRATCH_EN: 0
; COMPUTE_PGM_RSRC2:USER_SGPR: 6
; COMPUTE_PGM_RSRC2:TRAP_HANDLER: 0
; COMPUTE_PGM_RSRC2:TGID_X_EN: 1
; COMPUTE_PGM_RSRC2:TGID_Y_EN: 0
; COMPUTE_PGM_RSRC2:TGID_Z_EN: 0
; COMPUTE_PGM_RSRC2:TIDIG_COMP_CNT: 0
	.type	__hip_cuid_6042e0a94dd2104e,@object ; @__hip_cuid_6042e0a94dd2104e
	.section	.bss,"aw",@nobits
	.globl	__hip_cuid_6042e0a94dd2104e
__hip_cuid_6042e0a94dd2104e:
	.byte	0                               ; 0x0
	.size	__hip_cuid_6042e0a94dd2104e, 1

	.ident	"AMD clang version 19.0.0git (https://github.com/RadeonOpenCompute/llvm-project roc-6.4.0 25133 c7fe45cf4b819c5991fe208aaa96edf142730f1d)"
	.section	".note.GNU-stack","",@progbits
	.addrsig
	.addrsig_sym __hip_cuid_6042e0a94dd2104e
	.amdgpu_metadata
---
amdhsa.kernels:
  - .args:
      - .actual_access:  read_only
        .address_space:  global
        .offset:         0
        .size:           8
        .value_kind:     global_buffer
      - .offset:         8
        .size:           8
        .value_kind:     by_value
      - .actual_access:  read_only
        .address_space:  global
        .offset:         16
        .size:           8
        .value_kind:     global_buffer
      - .actual_access:  read_only
        .address_space:  global
        .offset:         24
        .size:           8
        .value_kind:     global_buffer
      - .offset:         32
        .size:           8
        .value_kind:     by_value
      - .actual_access:  read_only
        .address_space:  global
        .offset:         40
        .size:           8
        .value_kind:     global_buffer
      - .actual_access:  read_only
        .address_space:  global
        .offset:         48
        .size:           8
        .value_kind:     global_buffer
      - .offset:         56
        .size:           4
        .value_kind:     by_value
      - .actual_access:  read_only
        .address_space:  global
        .offset:         64
        .size:           8
        .value_kind:     global_buffer
      - .actual_access:  read_only
        .address_space:  global
        .offset:         72
        .size:           8
        .value_kind:     global_buffer
      - .address_space:  global
        .offset:         80
        .size:           8
        .value_kind:     global_buffer
    .group_segment_fixed_size: 0
    .kernarg_segment_align: 8
    .kernarg_segment_size: 88
    .language:       OpenCL C
    .language_version:
      - 2
      - 0
    .max_flat_workgroup_size: 63
    .name:           fft_rtc_back_len1512_factors_2_2_2_3_3_3_7_wgs_63_tpt_63_halfLds_half_ip_CI_unitstride_sbrr_C2R_dirReg
    .private_segment_fixed_size: 0
    .sgpr_count:     26
    .sgpr_spill_count: 0
    .symbol:         fft_rtc_back_len1512_factors_2_2_2_3_3_3_7_wgs_63_tpt_63_halfLds_half_ip_CI_unitstride_sbrr_C2R_dirReg.kd
    .uniform_work_group_size: 1
    .uses_dynamic_stack: false
    .vgpr_count:     84
    .vgpr_spill_count: 0
    .wavefront_size: 64
amdhsa.target:   amdgcn-amd-amdhsa--gfx906
amdhsa.version:
  - 1
  - 2
...

	.end_amdgpu_metadata
